;; amdgpu-corpus repo=ROCm/rocFFT kind=compiled arch=gfx906 opt=O3
	.text
	.amdgcn_target "amdgcn-amd-amdhsa--gfx906"
	.amdhsa_code_object_version 6
	.protected	bluestein_single_fwd_len204_dim1_dp_op_CI_CI ; -- Begin function bluestein_single_fwd_len204_dim1_dp_op_CI_CI
	.globl	bluestein_single_fwd_len204_dim1_dp_op_CI_CI
	.p2align	8
	.type	bluestein_single_fwd_len204_dim1_dp_op_CI_CI,@function
bluestein_single_fwd_len204_dim1_dp_op_CI_CI: ; @bluestein_single_fwd_len204_dim1_dp_op_CI_CI
; %bb.0:
	s_mov_b64 s[62:63], s[2:3]
	v_mul_u32_u24_e32 v1, 0xf10, v0
	s_mov_b64 s[60:61], s[0:1]
	s_load_dwordx4 s[0:3], s[4:5], 0x28
	v_lshrrev_b32_e32 v1, 16, v1
	s_add_u32 s60, s60, s7
	v_mad_u64_u32 v[183:184], s[6:7], s6, 7, v[1:2]
	v_mov_b32_e32 v184, 0
	s_addc_u32 s61, s61, 0
	s_waitcnt lgkmcnt(0)
	v_cmp_gt_u64_e32 vcc, s[0:1], v[183:184]
	s_and_saveexec_b64 s[0:1], vcc
	s_cbranch_execz .LBB0_15
; %bb.1:
	s_mov_b32 s0, 0x24924925
	v_mul_hi_u32 v2, v183, s0
	s_load_dwordx2 s[12:13], s[4:5], 0x0
	s_load_dwordx2 s[14:15], s[4:5], 0x38
	v_mul_lo_u16_e32 v1, 17, v1
	v_sub_u16_e32 v227, v0, v1
	v_sub_u32_e32 v3, v183, v2
	v_lshrrev_b32_e32 v3, 1, v3
	v_add_u32_e32 v2, v3, v2
	v_lshrrev_b32_e32 v2, 2, v2
	v_mul_lo_u32 v2, v2, 7
	v_cmp_gt_u16_e32 vcc, 12, v227
	v_lshlrev_b32_e32 v160, 4, v227
	v_or_b32_e32 v232, 48, v227
	v_sub_u32_e32 v0, v183, v2
	v_mul_u32_u24_e32 v0, 0xcc, v0
	v_lshlrev_b32_e32 v255, 4, v0
	buffer_store_dword v0, off, s[60:63], 0 ; 4-byte Folded Spill
	s_and_saveexec_b64 s[6:7], vcc
	s_cbranch_execz .LBB0_3
; %bb.2:
	s_load_dwordx2 s[0:1], s[4:5], 0x18
	v_or_b32_e32 v46, 0x60, v227
	v_or_b32_e32 v89, 0x90, v227
	;; [unrolled: 1-line block ×3, first 2 shown]
	s_waitcnt lgkmcnt(0)
	s_load_dwordx4 s[8:11], s[0:1], 0x0
	s_waitcnt lgkmcnt(0)
	v_mad_u64_u32 v[0:1], s[0:1], s10, v183, 0
	v_mad_u64_u32 v[2:3], s[0:1], s8, v227, 0
	s_mul_hi_u32 s17, s8, 0x180
	s_mul_i32 s10, s8, 0xc0
	v_mad_u64_u32 v[4:5], s[0:1], s11, v183, v[1:2]
	s_mul_hi_u32 s11, s8, 0xc0
	s_mul_i32 s16, s8, 0x180
	v_mad_u64_u32 v[5:6], s[0:1], s9, v227, v[3:4]
	v_mov_b32_e32 v1, v4
	v_lshlrev_b64 v[0:1], 4, v[0:1]
	v_mov_b32_e32 v3, v5
	v_mov_b32_e32 v6, s3
	v_lshlrev_b64 v[2:3], 4, v[2:3]
	v_add_co_u32_e64 v20, s[0:1], s2, v0
	v_addc_co_u32_e64 v21, s[0:1], v6, v1, s[0:1]
	v_add_co_u32_e64 v38, s[0:1], v20, v2
	v_addc_co_u32_e64 v39, s[0:1], v21, v3, s[0:1]
	v_mad_u64_u32 v[40:41], s[0:1], s8, v232, 0
	v_mad_u64_u32 v[42:43], s[0:1], s8, v46, 0
	s_mul_i32 s2, s9, 0xc0
	s_mul_i32 s3, s9, 0x180
	v_mad_u64_u32 v[44:45], s[0:1], s9, v232, v[41:42]
	s_add_i32 s11, s11, s2
	s_add_i32 s17, s17, s3
	v_mad_u64_u32 v[45:46], s[0:1], s9, v46, v[43:44]
	v_mov_b32_e32 v41, v44
	v_lshlrev_b64 v[40:41], 4, v[40:41]
	v_mov_b32_e32 v43, v45
	v_lshlrev_b64 v[42:43], 4, v[42:43]
	v_add_co_u32_e64 v50, s[0:1], v20, v40
	v_add_co_u32_e64 v40, s[2:3], v20, v42
	v_addc_co_u32_e64 v51, s[0:1], v21, v41, s[0:1]
	v_addc_co_u32_e64 v41, s[0:1], v21, v43, s[2:3]
	v_mov_b32_e32 v47, s11
	v_add_co_u32_e64 v52, s[0:1], s10, v38
	v_addc_co_u32_e64 v53, s[0:1], v39, v47, s[0:1]
	v_mov_b32_e32 v55, s11
	v_add_co_u32_e64 v54, s[0:1], s10, v52
	;; [unrolled: 3-line block ×4, first 2 shown]
	v_addc_co_u32_e64 v62, s[0:1], v58, v59, s[0:1]
	global_load_dwordx4 v[0:3], v160, s[12:13]
	global_load_dwordx4 v[4:7], v[38:39], off
	global_load_dwordx4 v[8:11], v160, s[12:13] offset:192
	global_load_dwordx4 v[12:15], v160, s[12:13] offset:384
	;; [unrolled: 1-line block ×7, first 2 shown]
	v_mov_b32_e32 v63, s11
	v_add_co_u32_e64 v65, s[0:1], s10, v61
	v_addc_co_u32_e64 v66, s[0:1], v62, v63, s[0:1]
	v_mov_b32_e32 v67, s11
	v_add_co_u32_e64 v70, s[0:1], s10, v65
	v_addc_co_u32_e64 v71, s[0:1], v66, v67, s[0:1]
	;; [unrolled: 3-line block ×4, first 2 shown]
	v_mad_u64_u32 v[98:99], s[0:1], s8, v89, 0
	global_load_dwordx4 v[38:41], v[40:41], off
	s_nop 0
	global_load_dwordx4 v[42:45], v[50:51], off
	global_load_dwordx4 v[46:49], v[52:53], off
	v_mov_b32_e32 v88, s11
	global_load_dwordx4 v[50:53], v[54:55], off
	v_add_co_u32_e64 v102, s[0:1], s10, v86
	global_load_dwordx4 v[54:57], v[57:58], off
	v_addc_co_u32_e64 v103, s[0:1], v87, v88, s[0:1]
	global_load_dwordx4 v[58:61], v[61:62], off
	v_mov_b32_e32 v104, s17
	global_load_dwordx4 v[62:65], v[65:66], off
	v_mov_b32_e32 v116, s11
	global_load_dwordx4 v[66:69], v[70:71], off
	s_nop 0
	global_load_dwordx4 v[70:73], v[82:83], off
	global_load_dwordx4 v[74:77], v160, s[12:13] offset:1536
	global_load_dwordx4 v[78:81], v160, s[12:13] offset:1728
	v_mov_b32_e32 v120, s11
	global_load_dwordx4 v[82:85], v[86:87], off
	v_mov_b32_e32 v86, v99
	v_mad_u64_u32 v[99:100], s[0:1], s9, v89, v[86:87]
	global_load_dwordx4 v[86:89], v[102:103], off
	global_load_dwordx4 v[90:93], v160, s[12:13] offset:1920
	global_load_dwordx4 v[94:97], v160, s[12:13] offset:2112
	v_lshlrev_b64 v[98:99], 4, v[98:99]
	v_add_co_u32_e64 v98, s[0:1], v20, v98
	v_addc_co_u32_e64 v99, s[0:1], v21, v99, s[0:1]
	v_add_co_u32_e64 v114, s[0:1], s16, v102
	v_addc_co_u32_e64 v115, s[0:1], v103, v104, s[0:1]
	;; [unrolled: 2-line block ×3, first 2 shown]
	v_mad_u64_u32 v[130:131], s[0:1], s8, v121, 0
	global_load_dwordx4 v[98:101], v[98:99], off
	s_nop 0
	global_load_dwordx4 v[102:105], v[114:115], off
	global_load_dwordx4 v[106:109], v160, s[12:13] offset:2304
	global_load_dwordx4 v[110:113], v160, s[12:13] offset:2496
	s_waitcnt vmcnt(26)
	v_mul_f64 v[138:139], v[6:7], v[2:3]
	global_load_dwordx4 v[114:117], v[118:119], off
	v_add_co_u32_e64 v118, s[0:1], s10, v118
	v_addc_co_u32_e64 v119, s[0:1], v119, v120, s[0:1]
	v_mov_b32_e32 v120, v131
	v_mad_u64_u32 v[131:132], s[0:1], s9, v121, v[120:121]
	global_load_dwordx4 v[118:121], v[118:119], off
	s_nop 0
	global_load_dwordx4 v[122:125], v160, s[12:13] offset:2688
	global_load_dwordx4 v[126:129], v160, s[12:13] offset:2880
	v_lshlrev_b64 v[130:131], 4, v[130:131]
	v_add_co_u32_e64 v20, s[0:1], v20, v130
	v_addc_co_u32_e64 v21, s[0:1], v21, v131, s[0:1]
	global_load_dwordx4 v[130:133], v[20:21], off
	global_load_dwordx4 v[134:137], v160, s[12:13] offset:3072
	v_mul_f64 v[20:21], v[4:5], v[2:3]
	v_fma_f64 v[2:3], v[4:5], v[0:1], v[138:139]
	v_fma_f64 v[4:5], v[6:7], v[0:1], -v[20:21]
	v_lshl_add_u32 v6, v227, 4, v255
	s_waitcnt vmcnt(23)
	v_mul_f64 v[20:21], v[42:43], v[24:25]
	s_waitcnt vmcnt(22)
	v_mul_f64 v[0:1], v[48:49], v[10:11]
	ds_write_b128 v6, v[2:5]
	v_mul_f64 v[2:3], v[46:47], v[10:11]
	s_waitcnt vmcnt(21)
	v_mul_f64 v[4:5], v[52:53], v[14:15]
	v_mul_f64 v[6:7], v[50:51], v[14:15]
	s_waitcnt vmcnt(20)
	v_mul_f64 v[10:11], v[56:57], v[18:19]
	v_mul_f64 v[14:15], v[54:55], v[18:19]
	;; [unrolled: 1-line block ×3, first 2 shown]
	v_fma_f64 v[0:1], v[46:47], v[8:9], v[0:1]
	v_add_u32_e32 v46, v255, v160
	v_fma_f64 v[2:3], v[48:49], v[8:9], -v[2:3]
	v_fma_f64 v[4:5], v[50:51], v[12:13], v[4:5]
	v_fma_f64 v[6:7], v[52:53], v[12:13], -v[6:7]
	v_fma_f64 v[8:9], v[54:55], v[16:17], v[10:11]
	;; [unrolled: 2-line block ×3, first 2 shown]
	s_waitcnt vmcnt(19)
	v_mul_f64 v[16:17], v[60:61], v[28:29]
	v_mul_f64 v[18:19], v[58:59], v[28:29]
	v_fma_f64 v[14:15], v[44:45], v[22:23], -v[20:21]
	s_waitcnt vmcnt(18)
	v_mul_f64 v[20:21], v[64:65], v[32:33]
	v_mul_f64 v[22:23], v[62:63], v[32:33]
	s_waitcnt vmcnt(17)
	v_mul_f64 v[24:25], v[68:69], v[36:37]
	v_mul_f64 v[28:29], v[66:67], v[36:37]
	s_waitcnt vmcnt(15)
	v_mul_f64 v[32:33], v[40:41], v[76:77]
	v_mul_f64 v[36:37], v[38:39], v[76:77]
	v_fma_f64 v[16:17], v[58:59], v[26:27], v[16:17]
	v_fma_f64 v[18:19], v[60:61], v[26:27], -v[18:19]
	v_fma_f64 v[20:21], v[62:63], v[30:31], v[20:21]
	v_fma_f64 v[22:23], v[64:65], v[30:31], -v[22:23]
	;; [unrolled: 2-line block ×4, first 2 shown]
	ds_write_b128 v46, v[0:3] offset:192
	ds_write_b128 v46, v[4:7] offset:384
	;; [unrolled: 1-line block ×8, first 2 shown]
	s_waitcnt vmcnt(14)
	v_mul_f64 v[0:1], v[72:73], v[80:81]
	v_mul_f64 v[2:3], v[70:71], v[80:81]
	s_waitcnt vmcnt(11)
	v_mul_f64 v[4:5], v[84:85], v[92:93]
	v_mul_f64 v[6:7], v[82:83], v[92:93]
	;; [unrolled: 3-line block ×5, first 2 shown]
	v_fma_f64 v[0:1], v[70:71], v[78:79], v[0:1]
	v_fma_f64 v[2:3], v[72:73], v[78:79], -v[2:3]
	v_fma_f64 v[4:5], v[82:83], v[90:91], v[4:5]
	v_fma_f64 v[6:7], v[84:85], v[90:91], -v[6:7]
	;; [unrolled: 2-line block ×5, first 2 shown]
	s_waitcnt vmcnt(3)
	v_mul_f64 v[20:21], v[116:117], v[124:125]
	v_mul_f64 v[22:23], v[114:115], v[124:125]
	s_waitcnt vmcnt(2)
	v_mul_f64 v[24:25], v[120:121], v[128:129]
	v_mul_f64 v[26:27], v[118:119], v[128:129]
	v_fma_f64 v[20:21], v[114:115], v[122:123], v[20:21]
	s_waitcnt vmcnt(0)
	v_mul_f64 v[28:29], v[132:133], v[136:137]
	v_mul_f64 v[30:31], v[130:131], v[136:137]
	v_fma_f64 v[22:23], v[116:117], v[122:123], -v[22:23]
	v_fma_f64 v[24:25], v[118:119], v[126:127], v[24:25]
	v_fma_f64 v[26:27], v[120:121], v[126:127], -v[26:27]
	v_fma_f64 v[28:29], v[130:131], v[134:135], v[28:29]
	v_fma_f64 v[30:31], v[132:133], v[134:135], -v[30:31]
	ds_write_b128 v46, v[0:3] offset:1728
	ds_write_b128 v46, v[4:7] offset:1920
	;; [unrolled: 1-line block ×8, first 2 shown]
.LBB0_3:
	s_or_b64 exec, exec, s[6:7]
	s_load_dwordx2 s[0:1], s[4:5], 0x20
	s_load_dwordx2 s[2:3], s[4:5], 0x8
	s_waitcnt vmcnt(0) lgkmcnt(0)
	s_barrier
	s_waitcnt lgkmcnt(0)
                                        ; implicit-def: $vgpr20_vgpr21
                                        ; implicit-def: $vgpr76_vgpr77
                                        ; implicit-def: $vgpr72_vgpr73
                                        ; implicit-def: $vgpr24_vgpr25
                                        ; implicit-def: $vgpr28_vgpr29
                                        ; implicit-def: $vgpr32_vgpr33
                                        ; implicit-def: $vgpr36_vgpr37
                                        ; implicit-def: $vgpr48_vgpr49
                                        ; implicit-def: $vgpr52_vgpr53
                                        ; implicit-def: $vgpr56_vgpr57
                                        ; implicit-def: $vgpr60_vgpr61
                                        ; implicit-def: $vgpr44_vgpr45
                                        ; implicit-def: $vgpr40_vgpr41
                                        ; implicit-def: $vgpr64_vgpr65
                                        ; implicit-def: $vgpr68_vgpr69
                                        ; implicit-def: $vgpr84_vgpr85
                                        ; implicit-def: $vgpr80_vgpr81
	s_and_saveexec_b64 s[4:5], vcc
	s_cbranch_execz .LBB0_5
; %bb.4:
	buffer_load_dword v0, off, s[60:63], 0  ; 4-byte Folded Reload
	s_waitcnt vmcnt(0)
	v_lshl_add_u32 v0, v0, 4, v160
	ds_read_b128 v[20:23], v0
	ds_read_b128 v[80:83], v0 offset:192
	ds_read_b128 v[84:87], v0 offset:384
	;; [unrolled: 1-line block ×16, first 2 shown]
.LBB0_5:
	s_or_b64 exec, exec, s[4:5]
	s_waitcnt lgkmcnt(0)
	v_add_f64 v[215:216], v[82:83], -v[62:63]
	v_add_f64 v[197:198], v[80:81], -v[60:61]
	s_mov_b32 s26, 0x2a9d6da3
	s_mov_b32 s30, 0x7c9e640b
	;; [unrolled: 1-line block ×4, first 2 shown]
	v_add_f64 v[102:103], v[60:61], v[80:81]
	v_add_f64 v[104:105], v[62:63], v[82:83]
	v_mul_f64 v[205:206], v[215:216], s[30:31]
	v_mul_f64 v[190:191], v[197:198], s[26:27]
	v_add_f64 v[233:234], v[86:87], -v[58:59]
	v_add_f64 v[225:226], v[84:85], -v[56:57]
	s_mov_b32 s10, 0x75d4884
	s_mov_b32 s6, 0x2b2883cd
	;; [unrolled: 1-line block ×8, first 2 shown]
	v_fma_f64 v[6:7], v[104:105], s[10:11], -v[190:191]
	v_fma_f64 v[8:9], v[102:103], s[6:7], v[205:206]
	v_add_f64 v[122:123], v[56:57], v[84:85]
	v_add_f64 v[126:127], v[58:59], v[86:87]
	v_mul_f64 v[213:214], v[225:226], s[36:37]
	v_mul_f64 v[230:231], v[233:234], s[34:35]
	s_mov_b32 s8, 0x3259b75e
	s_mov_b32 s18, 0x6ed5f1bb
	;; [unrolled: 1-line block ×4, first 2 shown]
	v_add_f64 v[6:7], v[22:23], v[6:7]
	v_add_f64 v[8:9], v[20:21], v[8:9]
	v_fma_f64 v[18:19], v[126:127], s[8:9], -v[213:214]
	v_fma_f64 v[88:89], v[122:123], s[18:19], v[230:231]
	v_add_f64 v[237:238], v[78:79], -v[54:55]
	v_add_f64 v[235:236], v[76:77], -v[52:53]
	s_mov_b32 s38, 0xacd6c6b4
	s_mov_b32 s39, 0xbfc7851a
	;; [unrolled: 1-line block ×4, first 2 shown]
	v_add_f64 v[6:7], v[18:19], v[6:7]
	v_add_f64 v[8:9], v[88:89], v[8:9]
	v_mul_f64 v[88:89], v[237:238], s[44:45]
	v_mul_f64 v[18:19], v[235:236], s[34:35]
	;; [unrolled: 1-line block ×3, first 2 shown]
	buffer_store_dword v18, off, s[60:63], 0 offset:28 ; 4-byte Folded Spill
	s_nop 0
	buffer_store_dword v19, off, s[60:63], 0 offset:32 ; 4-byte Folded Spill
	buffer_store_dword v88, off, s[60:63], 0 offset:44 ; 4-byte Folded Spill
	s_nop 0
	buffer_store_dword v89, off, s[60:63], 0 offset:48 ; 4-byte Folded Spill
	;; [unrolled: 3-line block ×3, first 2 shown]
	v_mul_f64 v[209:210], v[197:198], s[30:31]
	s_mov_b32 s24, 0x5d8e7cdc
	s_mov_b32 s25, 0xbfd71e95
	v_mul_f64 v[92:93], v[215:216], s[24:25]
	v_mul_f64 v[243:244], v[225:226], s[34:35]
	s_mov_b32 s4, 0x370991
	s_mov_b32 s5, 0x3fedd6d0
	v_mul_f64 v[94:95], v[197:198], s[24:25]
	v_fma_f64 v[10:11], v[104:105], s[6:7], -v[209:210]
	v_mul_f64 v[188:189], v[215:216], s[26:27]
	v_mul_f64 v[199:200], v[233:234], s[26:27]
	v_fma_f64 v[0:1], v[102:103], s[4:5], v[92:93]
	v_fma_f64 v[90:91], v[126:127], s[18:19], -v[243:244]
	v_mul_f64 v[201:202], v[225:226], s[26:27]
	v_mul_f64 v[203:204], v[233:234], s[36:37]
	v_fma_f64 v[2:3], v[104:105], s[4:5], -v[94:95]
	v_add_f64 v[10:11], v[22:23], v[10:11]
	v_fma_f64 v[4:5], v[102:103], s[10:11], v[188:189]
	v_fma_f64 v[12:13], v[122:123], s[10:11], v[199:200]
	v_add_f64 v[0:1], v[20:21], v[0:1]
	v_add_f64 v[142:143], v[76:77], v[52:53]
	v_fma_f64 v[14:15], v[126:127], s[10:11], -v[201:202]
	v_fma_f64 v[16:17], v[122:123], s[8:9], v[203:204]
	v_add_f64 v[2:3], v[22:23], v[2:3]
	v_add_f64 v[10:11], v[90:91], v[10:11]
	v_mul_f64 v[90:91], v[237:238], s[30:31]
	v_add_f64 v[4:5], v[20:21], v[4:5]
	v_add_f64 v[0:1], v[12:13], v[0:1]
	v_add_f64 v[144:145], v[78:79], v[54:55]
	v_mul_f64 v[217:218], v[235:236], s[30:31]
	v_mul_f64 v[219:220], v[237:238], s[34:35]
	s_mov_b32 s22, 0x7faef3
	s_mov_b32 s23, 0xbfef7484
	v_fma_f64 v[12:13], v[142:143], s[6:7], v[90:91]
	v_add_f64 v[2:3], v[14:15], v[2:3]
	v_add_f64 v[4:5], v[16:17], v[4:5]
	v_add_f64 v[106:107], v[74:75], -v[50:51]
	v_fma_f64 v[14:15], v[144:145], s[6:7], -v[217:218]
	v_fma_f64 v[16:17], v[142:143], s[18:19], v[219:220]
	v_add_f64 v[239:240], v[72:73], -v[48:49]
	s_mov_b32 s40, 0x923c349f
	v_add_f64 v[0:1], v[12:13], v[0:1]
	s_mov_b32 s41, 0xbfeec746
	s_mov_b32 s43, 0x3feec746
	;; [unrolled: 1-line block ×3, first 2 shown]
	v_add_f64 v[2:3], v[14:15], v[2:3]
	v_add_f64 v[4:5], v[16:17], v[4:5]
	v_mul_f64 v[14:15], v[239:240], s[36:37]
	v_mul_f64 v[16:17], v[106:107], s[38:39]
	buffer_store_dword v14, off, s[60:63], 0 offset:4 ; 4-byte Folded Spill
	s_nop 0
	buffer_store_dword v15, off, s[60:63], 0 offset:8 ; 4-byte Folded Spill
	buffer_store_dword v16, off, s[60:63], 0 offset:12 ; 4-byte Folded Spill
	s_nop 0
	buffer_store_dword v17, off, s[60:63], 0 offset:16 ; 4-byte Folded Spill
	v_add_f64 v[156:157], v[72:73], v[48:49]
	v_mul_f64 v[241:242], v[106:107], s[36:37]
	v_add_f64 v[161:162], v[74:75], v[50:51]
	v_add_f64 v[124:125], v[70:71], -v[38:39]
	s_mov_b32 s16, 0xc61f0d01
	s_mov_b32 s17, 0xbfd183b1
	v_add_f64 v[100:101], v[68:69], -v[36:37]
	s_mov_b32 s46, 0x4363dd80
	s_mov_b32 s47, 0x3fe0d888
	v_add_f64 v[173:174], v[36:37], v[68:69]
	s_mov_b32 s49, 0x3fe58eea
	v_mul_f64 v[108:109], v[124:125], s[46:47]
	s_mov_b32 s48, s26
	v_add_f64 v[175:176], v[38:39], v[70:71]
	v_mul_f64 v[98:99], v[100:101], s[40:41]
	s_mov_b32 s20, 0x910ea3b9
	s_mov_b32 s21, 0xbfeb34fa
	v_add_f64 v[158:159], v[66:67], -v[34:35]
	v_add_f64 v[120:121], v[64:65], -v[32:33]
	v_fma_f64 v[12:13], v[144:145], s[18:19], -v[18:19]
	v_fma_f64 v[18:19], v[142:143], s[22:23], v[88:89]
	v_fma_f64 v[88:89], v[144:145], s[22:23], -v[96:97]
	v_mul_f64 v[96:97], v[239:240], s[42:43]
	v_add_f64 v[193:194], v[32:33], v[64:65]
	v_add_f64 v[177:178], v[26:27], -v[46:47]
	s_mov_b32 s53, 0xbfe0d888
	s_mov_b32 s52, s46
	v_add_f64 v[6:7], v[12:13], v[6:7]
	v_add_f64 v[8:9], v[18:19], v[8:9]
	;; [unrolled: 1-line block ×3, first 2 shown]
	v_mul_f64 v[18:19], v[239:240], s[38:39]
	v_mul_f64 v[88:89], v[106:107], s[42:43]
	buffer_store_dword v18, off, s[60:63], 0 offset:92 ; 4-byte Folded Spill
	s_nop 0
	buffer_store_dword v19, off, s[60:63], 0 offset:96 ; 4-byte Folded Spill
	buffer_store_dword v88, off, s[60:63], 0 offset:164 ; 4-byte Folded Spill
	s_nop 0
	buffer_store_dword v89, off, s[60:63], 0 offset:168 ; 4-byte Folded Spill
	;; [unrolled: 3-line block ×3, first 2 shown]
	v_fma_f64 v[12:13], v[156:157], s[8:9], v[241:242]
	v_mul_f64 v[110:111], v[120:121], s[24:25]
	v_add_f64 v[195:196], v[34:35], v[66:67]
	v_add_f64 v[152:153], v[24:25], -v[44:45]
	v_add_f64 v[207:208], v[24:25], v[44:45]
	s_mov_b32 s55, 0x3feca52d
	s_mov_b32 s54, s30
	v_add_f64 v[211:212], v[26:27], v[46:47]
	v_add_f64 v[0:1], v[12:13], v[0:1]
	v_add_f64 v[181:182], v[30:31], -v[42:43]
	v_add_f64 v[179:180], v[28:29], -v[40:41]
	s_mov_b32 s51, 0x3fd71e95
	s_mov_b32 s50, s24
	v_add_f64 v[221:222], v[28:29], v[40:41]
	v_add_f64 v[223:224], v[30:31], v[42:43]
	v_mul_f64 v[228:229], v[215:216], s[36:37]
	v_mul_f64 v[249:250], v[237:238], s[42:43]
	;; [unrolled: 1-line block ×6, first 2 shown]
	s_mov_b32 s59, 0x3fe9895b
	s_mov_b32 s58, s34
	v_mul_f64 v[251:252], v[177:178], s[58:59]
	v_mul_f64 v[116:117], v[152:153], s[58:59]
	v_mul_f64 v[247:248], v[181:182], s[48:49]
	v_mul_f64 v[118:119], v[179:180], s[48:49]
	v_mul_f64 v[128:129], v[215:216], s[40:41]
	v_mul_f64 v[130:131], v[233:234], s[46:47]
	v_mul_f64 v[148:149], v[197:198], s[40:41]
	v_mul_f64 v[150:151], v[225:226], s[46:47]
	v_mul_f64 v[134:135], v[237:238], s[48:49]
	v_mul_f64 v[163:164], v[235:236], s[48:49]
	v_mul_f64 v[132:133], v[106:107], s[30:31]
	v_mul_f64 v[154:155], v[239:240], s[30:31]
	v_mul_f64 v[136:137], v[124:125], s[38:39]
	v_fma_f64 v[12:13], v[161:162], s[8:9], -v[14:15]
	v_fma_f64 v[14:15], v[156:157], s[22:23], v[16:17]
	v_mul_f64 v[165:166], v[100:101], s[38:39]
	s_mov_b32 s57, 0x3fefdd0d
	s_mov_b32 s56, s36
	v_mul_f64 v[138:139], v[158:159], s[56:57]
	v_mul_f64 v[167:168], v[120:121], s[56:57]
	;; [unrolled: 1-line block ×3, first 2 shown]
	v_add_f64 v[2:3], v[12:13], v[2:3]
	v_add_f64 v[4:5], v[14:15], v[4:5]
	v_mul_f64 v[169:170], v[152:153], s[24:25]
	v_mul_f64 v[146:147], v[181:182], s[34:35]
	;; [unrolled: 1-line block ×3, first 2 shown]
	v_fma_f64 v[16:17], v[161:162], s[22:23], -v[18:19]
	v_fma_f64 v[18:19], v[156:157], s[16:17], v[88:89]
	v_fma_f64 v[88:89], v[161:162], s[16:17], -v[96:97]
	v_mul_f64 v[96:97], v[124:125], s[40:41]
	buffer_store_dword v96, off, s[60:63], 0 offset:52 ; 4-byte Folded Spill
	s_nop 0
	buffer_store_dword v97, off, s[60:63], 0 offset:56 ; 4-byte Folded Spill
	v_add_f64 v[8:9], v[18:19], v[8:9]
	v_add_f64 v[10:11], v[88:89], v[10:11]
	buffer_store_dword v98, off, s[60:63], 0 offset:60 ; 4-byte Folded Spill
	s_nop 0
	buffer_store_dword v99, off, s[60:63], 0 offset:64 ; 4-byte Folded Spill
	buffer_store_dword v108, off, s[60:63], 0 offset:76 ; 4-byte Folded Spill
	s_nop 0
	buffer_store_dword v109, off, s[60:63], 0 offset:80 ; 4-byte Folded Spill
	v_mul_f64 v[18:19], v[100:101], s[46:47]
	v_mul_f64 v[88:89], v[124:125], s[48:49]
	buffer_store_dword v18, off, s[60:63], 0 offset:180 ; 4-byte Folded Spill
	s_nop 0
	buffer_store_dword v19, off, s[60:63], 0 offset:184 ; 4-byte Folded Spill
	buffer_store_dword v88, off, s[60:63], 0 offset:196 ; 4-byte Folded Spill
	s_nop 0
	buffer_store_dword v89, off, s[60:63], 0 offset:200 ; 4-byte Folded Spill
	v_add_f64 v[6:7], v[16:17], v[6:7]
	v_fma_f64 v[12:13], v[173:174], s[16:17], v[96:97]
	v_mul_f64 v[96:97], v[100:101], s[48:49]
	buffer_store_dword v96, off, s[60:63], 0 offset:252 ; 4-byte Folded Spill
	s_nop 0
	buffer_store_dword v97, off, s[60:63], 0 offset:256 ; 4-byte Folded Spill
	v_fma_f64 v[14:15], v[175:176], s[16:17], -v[98:99]
	v_fma_f64 v[16:17], v[173:174], s[20:21], v[108:109]
	v_add_f64 v[0:1], v[12:13], v[0:1]
	v_fma_f64 v[12:13], v[175:176], s[20:21], -v[18:19]
	v_mul_f64 v[18:19], v[158:159], s[34:35]
	buffer_store_dword v18, off, s[60:63], 0 offset:116 ; 4-byte Folded Spill
	s_nop 0
	buffer_store_dword v19, off, s[60:63], 0 offset:120 ; 4-byte Folded Spill
	v_add_f64 v[2:3], v[14:15], v[2:3]
	v_add_f64 v[4:5], v[16:17], v[4:5]
	v_fma_f64 v[14:15], v[173:174], s[10:11], v[88:89]
	v_mul_f64 v[88:89], v[120:121], s[34:35]
	buffer_store_dword v88, off, s[60:63], 0 offset:132 ; 4-byte Folded Spill
	s_nop 0
	buffer_store_dword v89, off, s[60:63], 0 offset:136 ; 4-byte Folded Spill
	v_mul_f64 v[98:99], v[120:121], s[42:43]
	v_mul_f64 v[108:109], v[158:159], s[24:25]
	v_add_f64 v[6:7], v[12:13], v[6:7]
	v_add_f64 v[8:9], v[14:15], v[8:9]
	v_fma_f64 v[16:17], v[175:176], s[10:11], -v[96:97]
	v_mul_f64 v[96:97], v[158:159], s[42:43]
	buffer_store_dword v96, off, s[60:63], 0 offset:148 ; 4-byte Folded Spill
	s_nop 0
	buffer_store_dword v97, off, s[60:63], 0 offset:152 ; 4-byte Folded Spill
	v_add_f64 v[10:11], v[16:17], v[10:11]
	buffer_store_dword v98, off, s[60:63], 0 offset:236 ; 4-byte Folded Spill
	s_nop 0
	buffer_store_dword v99, off, s[60:63], 0 offset:240 ; 4-byte Folded Spill
	buffer_store_dword v108, off, s[60:63], 0 offset:244 ; 4-byte Folded Spill
	s_nop 0
	buffer_store_dword v109, off, s[60:63], 0 offset:248 ; 4-byte Folded Spill
	buffer_store_dword v110, off, s[60:63], 0 offset:300 ; 4-byte Folded Spill
	s_nop 0
	buffer_store_dword v111, off, s[60:63], 0 offset:304 ; 4-byte Folded Spill
	v_fma_f64 v[12:13], v[193:194], s[18:19], v[18:19]
	v_add_f64 v[0:1], v[12:13], v[0:1]
	v_fma_f64 v[14:15], v[195:196], s[18:19], -v[88:89]
	v_add_f64 v[2:3], v[14:15], v[2:3]
	v_fma_f64 v[16:17], v[193:194], s[16:17], v[96:97]
	v_mul_f64 v[96:97], v[177:178], s[52:53]
	buffer_store_dword v96, off, s[60:63], 0 offset:212 ; 4-byte Folded Spill
	s_nop 0
	buffer_store_dword v97, off, s[60:63], 0 offset:216 ; 4-byte Folded Spill
	v_fma_f64 v[18:19], v[195:196], s[16:17], -v[98:99]
	v_fma_f64 v[88:89], v[193:194], s[4:5], v[108:109]
	v_mul_f64 v[98:99], v[152:153], s[52:53]
	buffer_store_dword v98, off, s[60:63], 0 offset:220 ; 4-byte Folded Spill
	s_nop 0
	buffer_store_dword v99, off, s[60:63], 0 offset:224 ; 4-byte Folded Spill
	v_add_f64 v[6:7], v[18:19], v[6:7]
	v_add_f64 v[8:9], v[88:89], v[8:9]
	v_mul_f64 v[18:19], v[177:178], s[54:55]
	v_mul_f64 v[88:89], v[177:178], s[36:37]
	buffer_store_dword v18, off, s[60:63], 0 offset:228 ; 4-byte Folded Spill
	s_nop 0
	buffer_store_dword v19, off, s[60:63], 0 offset:232 ; 4-byte Folded Spill
	v_add_f64 v[4:5], v[16:17], v[4:5]
	v_fma_f64 v[12:13], v[195:196], s[4:5], -v[110:111]
	v_mul_f64 v[108:109], v[152:153], s[36:37]
	v_mul_f64 v[110:111], v[235:236], s[42:43]
	v_add_f64 v[10:11], v[12:13], v[10:11]
	v_fma_f64 v[14:15], v[207:208], s[20:21], v[96:97]
	v_mul_f64 v[96:97], v[152:153], s[54:55]
	buffer_store_dword v96, off, s[60:63], 0 offset:292 ; 4-byte Folded Spill
	s_nop 0
	buffer_store_dword v97, off, s[60:63], 0 offset:296 ; 4-byte Folded Spill
	buffer_store_dword v88, off, s[60:63], 0 offset:276 ; 4-byte Folded Spill
	s_nop 0
	buffer_store_dword v89, off, s[60:63], 0 offset:280 ; 4-byte Folded Spill
	v_fma_f64 v[16:17], v[211:212], s[20:21], -v[98:99]
	v_add_f64 v[0:1], v[14:15], v[0:1]
	v_mul_f64 v[98:99], v[179:180], s[50:51]
	buffer_store_dword v108, off, s[60:63], 0 offset:332 ; 4-byte Folded Spill
	s_nop 0
	buffer_store_dword v109, off, s[60:63], 0 offset:336 ; 4-byte Folded Spill
	v_add_f64 v[2:3], v[16:17], v[2:3]
	v_fma_f64 v[12:13], v[207:208], s[6:7], v[18:19]
	v_mul_f64 v[18:19], v[181:182], s[38:39]
	buffer_store_dword v18, off, s[60:63], 0 offset:260 ; 4-byte Folded Spill
	s_nop 0
	buffer_store_dword v19, off, s[60:63], 0 offset:264 ; 4-byte Folded Spill
	v_add_f64 v[4:5], v[12:13], v[4:5]
	v_fma_f64 v[14:15], v[211:212], s[6:7], -v[96:97]
	v_fma_f64 v[16:17], v[207:208], s[8:9], v[88:89]
	v_mul_f64 v[88:89], v[179:180], s[38:39]
	v_mul_f64 v[96:97], v[181:182], s[50:51]
	buffer_store_dword v88, off, s[60:63], 0 offset:268 ; 4-byte Folded Spill
	s_nop 0
	buffer_store_dword v89, off, s[60:63], 0 offset:272 ; 4-byte Folded Spill
	buffer_store_dword v96, off, s[60:63], 0 offset:284 ; 4-byte Folded Spill
	s_nop 0
	buffer_store_dword v97, off, s[60:63], 0 offset:288 ; 4-byte Folded Spill
	;; [unrolled: 3-line block ×3, first 2 shown]
	v_add_f64 v[6:7], v[14:15], v[6:7]
	v_add_f64 v[8:9], v[16:17], v[8:9]
	v_fma_f64 v[12:13], v[211:212], s[8:9], -v[108:109]
	v_mul_f64 v[108:109], v[239:240], s[50:51]
	v_fma_f64 v[14:15], v[221:222], s[22:23], v[18:19]
	v_add_f64 v[10:11], v[12:13], v[10:11]
	v_fma_f64 v[12:13], v[102:103], s[8:9], v[228:229]
	v_add_f64 v[184:185], v[14:15], v[0:1]
	v_mul_f64 v[0:1], v[233:234], s[38:39]
	v_add_f64 v[12:13], v[20:21], v[12:13]
	v_fma_f64 v[16:17], v[223:224], s[22:23], -v[88:89]
	v_fma_f64 v[18:19], v[221:222], s[4:5], v[96:97]
	v_fma_f64 v[88:89], v[223:224], s[4:5], -v[98:99]
	v_mul_f64 v[96:97], v[181:182], s[52:53]
	v_mul_f64 v[98:99], v[179:180], s[52:53]
	buffer_store_dword v96, off, s[60:63], 0 offset:316 ; 4-byte Folded Spill
	s_nop 0
	buffer_store_dword v97, off, s[60:63], 0 offset:320 ; 4-byte Folded Spill
	v_add_f64 v[186:187], v[16:17], v[2:3]
	v_add_f64 v[2:3], v[18:19], v[4:5]
	buffer_store_dword v98, off, s[60:63], 0 offset:324 ; 4-byte Folded Spill
	s_nop 0
	buffer_store_dword v99, off, s[60:63], 0 offset:328 ; 4-byte Folded Spill
	v_mul_f64 v[18:19], v[197:198], s[36:37]
	buffer_store_dword v18, off, s[60:63], 0 offset:340 ; 4-byte Folded Spill
	s_nop 0
	buffer_store_dword v19, off, s[60:63], 0 offset:344 ; 4-byte Folded Spill
	v_add_f64 v[4:5], v[88:89], v[6:7]
	v_fma_f64 v[88:89], v[126:127], s[20:21], -v[150:151]
	s_waitcnt vmcnt(0)
	s_barrier
	v_fma_f64 v[14:15], v[221:222], s[20:21], v[96:97]
	v_mul_f64 v[96:97], v[158:159], s[52:53]
	v_fma_f64 v[16:17], v[223:224], s[20:21], -v[98:99]
	v_mul_f64 v[98:99], v[225:226], s[38:39]
	v_add_f64 v[6:7], v[14:15], v[8:9]
	v_fma_f64 v[14:15], v[122:123], s[22:23], v[0:1]
	v_add_f64 v[8:9], v[16:17], v[10:11]
	v_fma_f64 v[16:17], v[104:105], s[8:9], -v[18:19]
	v_fma_f64 v[18:19], v[122:123], s[20:21], v[130:131]
	v_add_f64 v[12:13], v[14:15], v[12:13]
	v_add_f64 v[14:15], v[22:23], v[16:17]
	v_fma_f64 v[16:17], v[126:127], s[22:23], -v[98:99]
	v_add_f64 v[14:15], v[16:17], v[14:15]
	v_fma_f64 v[16:17], v[142:143], s[16:17], v[249:250]
	v_add_f64 v[12:13], v[16:17], v[12:13]
	v_fma_f64 v[16:17], v[144:145], s[16:17], -v[110:111]
	v_add_f64 v[14:15], v[16:17], v[14:15]
	v_fma_f64 v[16:17], v[156:157], s[4:5], v[245:246]
	;; [unrolled: 4-line block ×7, first 2 shown]
	v_add_f64 v[16:17], v[20:21], v[16:17]
	v_add_f64 v[16:17], v[18:19], v[16:17]
	v_fma_f64 v[18:19], v[104:105], s[16:17], -v[148:149]
	v_add_f64 v[18:19], v[22:23], v[18:19]
	v_add_f64 v[18:19], v[88:89], v[18:19]
	v_fma_f64 v[88:89], v[142:143], s[10:11], v[134:135]
	v_add_f64 v[16:17], v[88:89], v[16:17]
	v_fma_f64 v[88:89], v[144:145], s[10:11], -v[163:164]
	v_add_f64 v[18:19], v[88:89], v[18:19]
	v_fma_f64 v[88:89], v[156:157], s[6:7], v[132:133]
	v_add_f64 v[16:17], v[88:89], v[16:17]
	v_fma_f64 v[88:89], v[161:162], s[6:7], -v[154:155]
	;; [unrolled: 4-line block ×6, first 2 shown]
	v_add_f64 v[16:17], v[88:89], v[18:19]
	s_and_saveexec_b64 s[28:29], vcc
	s_cbranch_execz .LBB0_7
; %bb.6:
	buffer_store_dword v92, off, s[60:63], 0 offset:372 ; 4-byte Folded Spill
	s_nop 0
	buffer_store_dword v93, off, s[60:63], 0 offset:376 ; 4-byte Folded Spill
	v_mul_f64 v[92:93], v[104:105], s[22:23]
	buffer_store_dword v94, off, s[60:63], 0 offset:380 ; 4-byte Folded Spill
	s_nop 0
	buffer_store_dword v95, off, s[60:63], 0 offset:384 ; 4-byte Folded Spill
	v_mul_f64 v[94:95], v[126:127], s[4:5]
	buffer_store_dword v90, off, s[60:63], 0 offset:364 ; 4-byte Folded Spill
	s_nop 0
	buffer_store_dword v91, off, s[60:63], 0 offset:368 ; 4-byte Folded Spill
	buffer_store_dword v14, off, s[60:63], 0 offset:348 ; 4-byte Folded Spill
	s_nop 0
	buffer_store_dword v15, off, s[60:63], 0 offset:352 ; 4-byte Folded Spill
	buffer_store_dword v16, off, s[60:63], 0 offset:356 ; 4-byte Folded Spill
	;; [unrolled: 1-line block ×3, first 2 shown]
	v_mov_b32_e32 v17, v13
	v_mov_b32_e32 v16, v12
	;; [unrolled: 1-line block ×3, first 2 shown]
	v_fma_f64 v[88:89], v[197:198], s[44:45], v[92:93]
	v_mov_b32_e32 v14, v10
	v_mov_b32_e32 v13, v9
	;; [unrolled: 1-line block ×10, first 2 shown]
	v_add_f64 v[88:89], v[22:23], v[88:89]
	v_fma_f64 v[90:91], v[225:226], s[24:25], v[94:95]
	v_mov_b32_e32 v3, v185
	v_mov_b32_e32 v4, v186
	;; [unrolled: 1-line block ×3, first 2 shown]
	v_mul_f64 v[185:186], v[215:216], s[38:39]
	buffer_store_dword v188, off, s[60:63], 0 offset:388 ; 4-byte Folded Spill
	s_nop 0
	buffer_store_dword v189, off, s[60:63], 0 offset:392 ; 4-byte Folded Spill
	v_mul_f64 v[187:188], v[233:234], s[50:51]
	buffer_store_dword v190, off, s[60:63], 0 offset:436 ; 4-byte Folded Spill
	s_nop 0
	buffer_store_dword v191, off, s[60:63], 0 offset:440 ; 4-byte Folded Spill
	v_add_f64 v[88:89], v[90:91], v[88:89]
	buffer_store_dword v199, off, s[60:63], 0 offset:396 ; 4-byte Folded Spill
	s_nop 0
	buffer_store_dword v200, off, s[60:63], 0 offset:400 ; 4-byte Folded Spill
	buffer_store_dword v201, off, s[60:63], 0 offset:404 ; 4-byte Folded Spill
	s_nop 0
	buffer_store_dword v202, off, s[60:63], 0 offset:408 ; 4-byte Folded Spill
	;; [unrolled: 3-line block ×3, first 2 shown]
	v_fma_f64 v[90:91], v[102:103], s[22:23], v[185:186]
	buffer_store_dword v205, off, s[60:63], 0 offset:452 ; 4-byte Folded Spill
	s_nop 0
	buffer_store_dword v206, off, s[60:63], 0 offset:456 ; 4-byte Folded Spill
	v_fma_f64 v[189:190], v[122:123], s[4:5], v[187:188]
	buffer_store_dword v209, off, s[60:63], 0 offset:468 ; 4-byte Folded Spill
	s_nop 0
	buffer_store_dword v210, off, s[60:63], 0 offset:472 ; 4-byte Folded Spill
	buffer_store_dword v213, off, s[60:63], 0 offset:444 ; 4-byte Folded Spill
	s_nop 0
	buffer_store_dword v214, off, s[60:63], 0 offset:448 ; 4-byte Folded Spill
	;; [unrolled: 3-line block ×5, first 2 shown]
	v_add_f64 v[90:91], v[20:21], v[90:91]
	buffer_store_dword v228, off, s[60:63], 0 offset:484 ; 4-byte Folded Spill
	s_nop 0
	buffer_store_dword v229, off, s[60:63], 0 offset:488 ; 4-byte Folded Spill
	v_mov_b32_e32 v0, v183
	v_mul_f64 v[228:229], v[223:224], s[8:9]
	v_fma_f64 v[92:93], v[197:198], s[38:39], v[92:93]
	buffer_store_dword v230, off, s[60:63], 0 offset:460 ; 4-byte Folded Spill
	s_nop 0
	buffer_store_dword v231, off, s[60:63], 0 offset:464 ; 4-byte Folded Spill
	v_mul_f64 v[230:231], v[181:182], s[56:57]
	v_fma_f64 v[94:95], v[225:226], s[50:51], v[94:95]
	v_add_f64 v[90:91], v[189:190], v[90:91]
	v_mul_f64 v[189:190], v[144:145], s[20:21]
	v_add_f64 v[80:81], v[20:21], v[80:81]
	v_add_f64 v[82:83], v[22:23], v[82:83]
	;; [unrolled: 1-line block ×3, first 2 shown]
	buffer_store_dword v241, off, s[60:63], 0 offset:492 ; 4-byte Folded Spill
	s_nop 0
	buffer_store_dword v242, off, s[60:63], 0 offset:496 ; 4-byte Folded Spill
	v_mov_b32_e32 v18, v243
	v_mul_f64 v[241:242], v[223:224], s[16:17]
	v_mov_b32_e32 v19, v244
	v_fma_f64 v[191:192], v[235:236], s[46:47], v[189:190]
	v_add_f64 v[84:85], v[84:85], v[80:81]
	v_add_f64 v[86:87], v[86:87], v[82:83]
	;; [unrolled: 1-line block ×3, first 2 shown]
	v_fma_f64 v[94:95], v[102:103], s[22:23], -v[185:186]
	v_fma_f64 v[185:186], v[221:222], s[8:9], -v[230:231]
	v_mul_f64 v[243:244], v[181:182], s[40:41]
	v_mul_f64 v[181:182], v[181:182], s[54:55]
	v_add_f64 v[88:89], v[191:192], v[88:89]
	v_mul_f64 v[191:192], v[237:238], s[52:53]
	v_add_f64 v[84:85], v[76:77], v[84:85]
	v_add_f64 v[86:87], v[78:79], v[86:87]
	;; [unrolled: 1-line block ×3, first 2 shown]
	buffer_load_dword v1, off, s[60:63], 0  ; 4-byte Folded Reload
	v_fma_f64 v[199:200], v[142:143], s[20:21], v[191:192]
	v_add_f64 v[84:85], v[72:73], v[84:85]
	v_add_f64 v[86:87], v[74:75], v[86:87]
	;; [unrolled: 1-line block ×3, first 2 shown]
	v_mul_f64 v[199:200], v[161:162], s[10:11]
	v_add_f64 v[84:85], v[68:69], v[84:85]
	v_add_f64 v[86:87], v[70:71], v[86:87]
	v_fma_f64 v[201:202], v[239:240], s[26:27], v[199:200]
	v_add_f64 v[84:85], v[64:65], v[84:85]
	v_add_f64 v[66:67], v[66:67], v[86:87]
	v_mul_f64 v[86:87], v[104:105], s[16:17]
	v_mul_f64 v[64:65], v[144:145], s[10:11]
	v_add_f64 v[88:89], v[201:202], v[88:89]
	v_mul_f64 v[201:202], v[106:107], s[48:49]
	v_add_f64 v[26:27], v[26:27], v[66:67]
	v_add_f64 v[86:87], v[148:149], v[86:87]
	;; [unrolled: 1-line block ×3, first 2 shown]
	v_mul_f64 v[148:149], v[161:162], s[8:9]
	v_add_f64 v[24:25], v[24:25], v[84:85]
	v_mul_f64 v[163:164], v[193:194], s[16:17]
	v_fma_f64 v[203:204], v[156:157], s[10:11], v[201:202]
	v_add_f64 v[26:27], v[30:31], v[26:27]
	v_add_f64 v[86:87], v[22:23], v[86:87]
	;; [unrolled: 1-line block ×4, first 2 shown]
	v_mul_f64 v[203:204], v[175:176], s[18:19]
	v_add_f64 v[26:27], v[42:43], v[26:27]
	v_add_f64 v[24:25], v[40:41], v[24:25]
	v_fma_f64 v[205:206], v[100:101], s[58:59], v[203:204]
	v_add_f64 v[26:27], v[46:47], v[26:27]
	v_add_f64 v[24:25], v[44:45], v[24:25]
	v_add_f64 v[88:89], v[205:206], v[88:89]
	v_mul_f64 v[205:206], v[124:125], s[34:35]
	v_add_f64 v[26:27], v[34:35], v[26:27]
	v_add_f64 v[24:25], v[32:33], v[24:25]
	v_fma_f64 v[209:210], v[173:174], s[18:19], v[205:206]
	v_add_f64 v[26:27], v[38:39], v[26:27]
	v_add_f64 v[24:25], v[36:37], v[24:25]
	v_add_f64 v[90:91], v[209:210], v[90:91]
	;; [unrolled: 7-line block ×3, first 2 shown]
	v_mul_f64 v[213:214], v[158:159], s[54:55]
	v_add_f64 v[24:25], v[56:57], v[24:25]
	v_fma_f64 v[217:218], v[193:194], s[6:7], v[213:214]
	v_add_f64 v[90:91], v[217:218], v[90:91]
	v_mul_f64 v[217:218], v[211:212], s[16:17]
	v_fma_f64 v[219:220], v[152:153], s[42:43], v[217:218]
	v_add_f64 v[88:89], v[219:220], v[88:89]
	v_mul_f64 v[219:220], v[177:178], s[40:41]
	v_fma_f64 v[183:184], v[207:208], s[16:17], v[219:220]
	v_add_f64 v[183:184], v[183:184], v[90:91]
	v_fma_f64 v[90:91], v[179:180], s[36:37], v[228:229]
	v_add_f64 v[90:91], v[90:91], v[88:89]
	;; [unrolled: 2-line block ×3, first 2 shown]
	v_fma_f64 v[183:184], v[122:123], s[4:5], -v[187:188]
	v_mul_f64 v[187:188], v[144:145], s[8:9]
	v_add_f64 v[94:95], v[183:184], v[94:95]
	v_fma_f64 v[183:184], v[235:236], s[52:53], v[189:190]
	v_mul_f64 v[189:190], v[161:162], s[18:19]
	v_add_f64 v[92:93], v[183:184], v[92:93]
	v_fma_f64 v[183:184], v[142:143], s[20:21], -v[191:192]
	v_mul_f64 v[191:192], v[175:176], s[4:5]
	v_add_f64 v[94:95], v[183:184], v[94:95]
	v_fma_f64 v[183:184], v[239:240], s[48:49], v[199:200]
	v_mul_f64 v[199:200], v[195:196], s[22:23]
	v_add_f64 v[92:93], v[183:184], v[92:93]
	;; [unrolled: 6-line block ×3, first 2 shown]
	v_fma_f64 v[183:184], v[173:174], s[18:19], -v[205:206]
	v_mul_f64 v[205:206], v[233:234], s[54:55]
	v_add_f64 v[94:95], v[183:184], v[94:95]
	v_fma_f64 v[183:184], v[120:121], s[54:55], v[209:210]
	v_fma_f64 v[209:210], v[122:123], s[6:7], v[205:206]
	v_add_f64 v[92:93], v[183:184], v[92:93]
	v_fma_f64 v[183:184], v[152:153], s[40:41], v[217:218]
	v_add_f64 v[92:93], v[183:184], v[92:93]
	v_fma_f64 v[183:184], v[193:194], s[6:7], -v[213:214]
	v_add_f64 v[94:95], v[183:184], v[94:95]
	v_fma_f64 v[183:184], v[207:208], s[16:17], -v[219:220]
	v_add_f64 v[183:184], v[183:184], v[94:95]
	v_fma_f64 v[94:95], v[179:180], s[56:57], v[228:229]
	v_add_f64 v[94:95], v[94:95], v[92:93]
	v_add_f64 v[92:93], v[185:186], v[183:184]
	v_mul_f64 v[183:184], v[104:105], s[20:21]
	v_mul_f64 v[185:186], v[126:127], s[6:7]
	v_fma_f64 v[80:81], v[197:198], s[46:47], v[183:184]
	v_fma_f64 v[82:83], v[225:226], s[30:31], v[185:186]
	;; [unrolled: 1-line block ×4, first 2 shown]
	v_fma_f64 v[183:184], v[122:123], s[6:7], -v[205:206]
	v_fma_f64 v[185:186], v[221:222], s[16:17], -v[243:244]
	v_mul_f64 v[205:206], v[233:234], s[42:43]
	v_add_f64 v[80:81], v[22:23], v[80:81]
	v_add_f64 v[76:77], v[22:23], v[76:77]
	;; [unrolled: 1-line block ×3, first 2 shown]
	v_fma_f64 v[82:83], v[235:236], s[56:57], v[187:188]
	v_add_f64 v[76:77], v[78:79], v[76:77]
	v_fma_f64 v[78:79], v[235:236], s[36:37], v[187:188]
	v_mul_f64 v[187:188], v[144:145], s[4:5]
	v_add_f64 v[80:81], v[82:83], v[80:81]
	v_fma_f64 v[82:83], v[239:240], s[34:35], v[189:190]
	v_add_f64 v[76:77], v[78:79], v[76:77]
	v_fma_f64 v[78:79], v[239:240], s[58:59], v[189:190]
	v_mul_f64 v[189:190], v[161:162], s[20:21]
	v_fma_f64 v[70:71], v[235:236], s[24:25], v[187:188]
	v_add_f64 v[80:81], v[82:83], v[80:81]
	v_fma_f64 v[82:83], v[100:101], s[50:51], v[191:192]
	v_add_f64 v[76:77], v[78:79], v[76:77]
	v_fma_f64 v[78:79], v[100:101], s[24:25], v[191:192]
	v_mul_f64 v[191:192], v[175:176], s[8:9]
	v_add_f64 v[80:81], v[82:83], v[80:81]
	v_fma_f64 v[82:83], v[120:121], s[44:45], v[199:200]
	v_add_f64 v[76:77], v[78:79], v[76:77]
	v_fma_f64 v[78:79], v[120:121], s[38:39], v[199:200]
	v_mul_f64 v[199:200], v[195:196], s[10:11]
	;; [unrolled: 5-line block ×3, first 2 shown]
	v_add_f64 v[80:81], v[82:83], v[80:81]
	v_fma_f64 v[82:83], v[102:103], s[20:21], v[203:204]
	v_add_f64 v[76:77], v[78:79], v[76:77]
	v_fma_f64 v[78:79], v[102:103], s[20:21], -v[203:204]
	v_mul_f64 v[203:204], v[215:216], s[34:35]
	v_mul_f64 v[215:216], v[223:224], s[6:7]
	v_add_f64 v[82:83], v[20:21], v[82:83]
	v_add_f64 v[78:79], v[20:21], v[78:79]
	;; [unrolled: 1-line block ×3, first 2 shown]
	v_mul_f64 v[209:210], v[237:238], s[36:37]
	v_add_f64 v[78:79], v[183:184], v[78:79]
	v_fma_f64 v[213:214], v[142:143], s[8:9], v[209:210]
	v_fma_f64 v[183:184], v[142:143], s[8:9], -v[209:210]
	v_fma_f64 v[209:210], v[122:123], s[16:17], v[205:206]
	v_add_f64 v[82:83], v[213:214], v[82:83]
	v_mul_f64 v[213:214], v[106:107], s[58:59]
	v_add_f64 v[78:79], v[183:184], v[78:79]
	v_mul_f64 v[106:107], v[106:107], s[52:53]
	v_fma_f64 v[217:218], v[156:157], s[18:19], v[213:214]
	v_fma_f64 v[183:184], v[156:157], s[18:19], -v[213:214]
	v_add_f64 v[82:83], v[217:218], v[82:83]
	v_mul_f64 v[217:218], v[124:125], s[24:25]
	v_add_f64 v[78:79], v[183:184], v[78:79]
	v_mul_f64 v[124:125], v[124:125], s[56:57]
	v_fma_f64 v[219:220], v[173:174], s[4:5], v[217:218]
	v_fma_f64 v[183:184], v[173:174], s[4:5], -v[217:218]
	;; [unrolled: 6-line block ×3, first 2 shown]
	v_add_f64 v[82:83], v[228:229], v[82:83]
	v_mul_f64 v[228:229], v[177:178], s[48:49]
	v_add_f64 v[78:79], v[183:184], v[78:79]
	v_mul_f64 v[177:178], v[177:178], s[38:39]
	v_fma_f64 v[183:184], v[207:208], s[10:11], -v[228:229]
	v_fma_f64 v[230:231], v[207:208], s[10:11], v[228:229]
	v_add_f64 v[183:184], v[183:184], v[78:79]
	v_fma_f64 v[78:79], v[179:180], s[40:41], v[241:242]
	v_add_f64 v[230:231], v[230:231], v[82:83]
	v_fma_f64 v[82:83], v[179:180], s[42:43], v[241:242]
	v_add_f64 v[78:79], v[78:79], v[76:77]
	v_add_f64 v[76:77], v[185:186], v[183:184]
	v_mul_f64 v[183:184], v[104:105], s[18:19]
	v_mul_f64 v[185:186], v[126:127], s[16:17]
	v_add_f64 v[82:83], v[82:83], v[80:81]
	v_fma_f64 v[80:81], v[221:222], s[16:17], v[243:244]
	v_fma_f64 v[72:73], v[197:198], s[58:59], v[183:184]
	;; [unrolled: 1-line block ×5, first 2 shown]
	v_add_f64 v[80:81], v[80:81], v[230:231]
	v_add_f64 v[72:73], v[22:23], v[72:73]
	;; [unrolled: 1-line block ×4, first 2 shown]
	v_fma_f64 v[74:75], v[235:236], s[50:51], v[187:188]
	v_add_f64 v[68:69], v[183:184], v[68:69]
	v_fma_f64 v[183:184], v[239:240], s[52:53], v[189:190]
	v_add_f64 v[72:73], v[74:75], v[72:73]
	;; [unrolled: 2-line block ×5, first 2 shown]
	v_fma_f64 v[100:101], v[120:121], s[26:27], v[199:200]
	v_mov_b32_e32 v187, v5
	v_mov_b32_e32 v186, v4
	;; [unrolled: 1-line block ×5, first 2 shown]
	v_add_f64 v[72:73], v[74:75], v[72:73]
	v_fma_f64 v[74:75], v[120:121], s[48:49], v[199:200]
	v_add_f64 v[68:69], v[70:71], v[68:69]
	v_fma_f64 v[70:71], v[152:153], s[38:39], v[201:202]
	v_fma_f64 v[120:121], v[122:123], s[16:17], -v[205:206]
	v_mov_b32_e32 v3, v7
	v_mov_b32_e32 v4, v8
	;; [unrolled: 1-line block ×4, first 2 shown]
	v_add_f64 v[72:73], v[74:75], v[72:73]
	v_fma_f64 v[74:75], v[152:153], s[44:45], v[201:202]
	v_add_f64 v[68:69], v[100:101], v[68:69]
	v_fma_f64 v[100:101], v[179:180], s[54:55], v[215:216]
	v_mov_b32_e32 v7, v11
	v_mov_b32_e32 v8, v12
	;; [unrolled: 1-line block ×5, first 2 shown]
	v_add_f64 v[72:73], v[74:75], v[72:73]
	v_fma_f64 v[74:75], v[102:103], s[18:19], v[203:204]
	v_add_f64 v[68:69], v[70:71], v[68:69]
	v_fma_f64 v[70:71], v[102:103], s[18:19], -v[203:204]
	v_mov_b32_e32 v12, v16
	v_mov_b32_e32 v13, v17
	buffer_load_dword v14, off, s[60:63], 0 offset:348 ; 4-byte Folded Reload
	buffer_load_dword v15, off, s[60:63], 0 offset:352 ; 4-byte Folded Reload
	;; [unrolled: 1-line block ×4, first 2 shown]
	v_mul_f64 v[152:153], v[161:162], s[22:23]
	v_mov_b32_e32 v183, v0
	v_add_f64 v[74:75], v[20:21], v[74:75]
	v_mul_lo_u16_e32 v0, 17, v227
	v_add_f64 v[70:71], v[20:21], v[70:71]
	s_waitcnt vmcnt(4)
	v_add_lshl_u32 v0, v1, v0, 4
	v_add_f64 v[74:75], v[209:210], v[74:75]
	v_mul_f64 v[209:210], v[237:238], s[24:25]
	v_add_f64 v[70:71], v[120:121], v[70:71]
	v_fma_f64 v[213:214], v[142:143], s[4:5], v[209:210]
	v_fma_f64 v[120:121], v[142:143], s[4:5], -v[209:210]
	v_add_f64 v[74:75], v[213:214], v[74:75]
	v_fma_f64 v[213:214], v[156:157], s[20:21], v[106:107]
	v_add_f64 v[70:71], v[120:121], v[70:71]
	v_fma_f64 v[106:107], v[156:157], s[20:21], -v[106:107]
	v_fma_f64 v[120:121], v[221:222], s[6:7], -v[181:182]
	v_add_f64 v[74:75], v[213:214], v[74:75]
	v_fma_f64 v[213:214], v[173:174], s[8:9], v[124:125]
	v_add_f64 v[70:71], v[106:107], v[70:71]
	v_fma_f64 v[106:107], v[173:174], s[8:9], -v[124:125]
	buffer_load_dword v124, off, s[60:63], 0 offset:340 ; 4-byte Folded Reload
	buffer_load_dword v125, off, s[60:63], 0 offset:344 ; 4-byte Folded Reload
	v_add_f64 v[74:75], v[213:214], v[74:75]
	v_fma_f64 v[213:214], v[193:194], s[10:11], v[158:159]
	v_add_f64 v[70:71], v[106:107], v[70:71]
	v_fma_f64 v[106:107], v[193:194], s[10:11], -v[158:159]
	v_mul_f64 v[158:159], v[175:176], s[20:21]
	v_add_f64 v[74:75], v[213:214], v[74:75]
	v_fma_f64 v[213:214], v[207:208], s[22:23], v[177:178]
	v_add_f64 v[70:71], v[106:107], v[70:71]
	v_fma_f64 v[106:107], v[207:208], s[22:23], -v[177:178]
	v_mul_f64 v[177:178], v[221:222], s[4:5]
	v_add_f64 v[213:214], v[213:214], v[74:75]
	v_fma_f64 v[74:75], v[179:180], s[30:31], v[215:216]
	v_add_f64 v[106:107], v[106:107], v[70:71]
	v_add_f64 v[70:71], v[100:101], v[68:69]
	v_mul_f64 v[100:101], v[126:127], s[20:21]
	v_mul_f64 v[179:180], v[223:224], s[4:5]
	v_add_f64 v[74:75], v[74:75], v[72:73]
	v_add_f64 v[68:69], v[120:121], v[106:107]
	v_mul_f64 v[106:107], v[102:103], s[16:17]
	v_add_f64 v[100:101], v[150:151], v[100:101]
	v_mul_f64 v[120:121], v[122:123], s[20:21]
	v_fma_f64 v[72:73], v[221:222], s[6:7], v[181:182]
	v_mul_f64 v[181:182], v[221:222], s[20:21]
	v_mul_f64 v[150:151], v[156:157], s[22:23]
	v_add_f64 v[106:107], v[106:107], -v[128:129]
	v_add_f64 v[86:87], v[100:101], v[86:87]
	v_mul_f64 v[100:101], v[161:162], s[6:7]
	v_add_f64 v[120:121], v[120:121], -v[130:131]
	v_mul_f64 v[128:129], v[211:212], s[8:9]
	v_mul_f64 v[130:131], v[195:196], s[4:5]
	v_add_f64 v[72:73], v[72:73], v[213:214]
	v_add_f64 v[106:107], v[20:21], v[106:107]
	;; [unrolled: 1-line block ×4, first 2 shown]
	v_mul_f64 v[86:87], v[175:176], s[22:23]
	v_mul_f64 v[154:155], v[173:174], s[16:17]
	v_add_f64 v[106:107], v[120:121], v[106:107]
	v_mul_f64 v[120:121], v[156:157], s[6:7]
	v_add_f64 v[64:65], v[100:101], v[64:65]
	v_add_f64 v[86:87], v[165:166], v[86:87]
	v_mul_f64 v[100:101], v[195:196], s[8:9]
	v_mul_f64 v[165:166], v[195:196], s[16:17]
	v_add_f64 v[120:121], v[120:121], -v[132:133]
	v_mul_f64 v[132:133], v[122:123], s[10:11]
	v_add_f64 v[64:65], v[86:87], v[64:65]
	v_add_f64 v[100:101], v[167:168], v[100:101]
	v_mul_f64 v[86:87], v[211:212], s[4:5]
	v_mul_f64 v[167:168], v[193:194], s[4:5]
	v_add_f64 v[64:65], v[100:101], v[64:65]
	v_add_f64 v[86:87], v[169:170], v[86:87]
	v_mul_f64 v[100:101], v[223:224], s[18:19]
	v_mul_f64 v[169:170], v[211:212], s[20:21]
	v_add_f64 v[64:65], v[86:87], v[64:65]
	v_mul_f64 v[86:87], v[142:143], s[10:11]
	v_add_f64 v[100:101], v[171:172], v[100:101]
	v_mul_f64 v[171:172], v[211:212], s[6:7]
	v_add_f64 v[86:87], v[86:87], -v[134:135]
	v_mul_f64 v[134:135], v[126:127], s[10:11]
	v_add_f64 v[64:65], v[100:101], v[64:65]
	v_add_f64 v[86:87], v[86:87], v[106:107]
	v_mul_f64 v[106:107], v[173:174], s[22:23]
	v_add_f64 v[86:87], v[120:121], v[86:87]
	v_add_f64 v[106:107], v[106:107], -v[136:137]
	v_mul_f64 v[120:121], v[193:194], s[8:9]
	v_mul_f64 v[136:137], v[142:143], s[6:7]
	v_add_f64 v[86:87], v[106:107], v[86:87]
	v_add_f64 v[120:121], v[120:121], -v[138:139]
	v_mul_f64 v[106:107], v[207:208], s[4:5]
	;; [unrolled: 4-line block ×3, first 2 shown]
	v_mul_f64 v[120:121], v[221:222], s[18:19]
	v_add_f64 v[106:107], v[106:107], v[86:87]
	v_mul_f64 v[86:87], v[144:145], s[16:17]
	v_add_f64 v[120:121], v[120:121], -v[146:147]
	v_mul_f64 v[146:147], v[156:157], s[8:9]
	v_add_f64 v[86:87], v[110:111], v[86:87]
	v_mul_f64 v[110:111], v[104:105], s[8:9]
	s_waitcnt vmcnt(0)
	v_add_f64 v[110:111], v[124:125], v[110:111]
	v_mul_f64 v[124:125], v[126:127], s[22:23]
	v_add_f64 v[110:111], v[22:23], v[110:111]
	v_add_f64 v[98:99], v[98:99], v[124:125]
	v_mul_f64 v[124:125], v[175:176], s[10:11]
	v_add_f64 v[98:99], v[98:99], v[110:111]
	v_mul_f64 v[110:111], v[161:162], s[4:5]
	v_add_f64 v[86:87], v[86:87], v[98:99]
	v_add_f64 v[108:109], v[108:109], v[110:111]
	v_mul_f64 v[98:99], v[175:176], s[6:7]
	v_mul_f64 v[110:111], v[102:103], s[8:9]
	v_add_f64 v[86:87], v[108:109], v[86:87]
	v_add_f64 v[98:99], v[112:113], v[98:99]
	v_mul_f64 v[108:109], v[195:196], s[20:21]
	buffer_load_dword v112, off, s[60:63], 0 offset:484 ; 4-byte Folded Reload
	buffer_load_dword v113, off, s[60:63], 0 offset:488 ; 4-byte Folded Reload
	v_add_f64 v[86:87], v[98:99], v[86:87]
	v_add_f64 v[108:109], v[114:115], v[108:109]
	buffer_load_dword v114, off, s[60:63], 0 offset:476 ; 4-byte Folded Reload
	buffer_load_dword v115, off, s[60:63], 0 offset:480 ; 4-byte Folded Reload
	v_mul_f64 v[98:99], v[211:212], s[18:19]
	v_add_f64 v[86:87], v[108:109], v[86:87]
	v_mul_f64 v[108:109], v[223:224], s[10:11]
	v_add_f64 v[98:99], v[116:117], v[98:99]
	;; [unrolled: 2-line block ×3, first 2 shown]
	v_add_f64 v[86:87], v[98:99], v[86:87]
	v_mul_f64 v[98:99], v[142:143], s[16:17]
	v_add_f64 v[116:117], v[116:117], -v[251:252]
	v_mul_f64 v[142:143], v[142:143], s[18:19]
	v_mul_f64 v[118:119], v[221:222], s[10:11]
	v_add_f64 v[86:87], v[108:109], v[86:87]
	v_add_f64 v[98:99], v[98:99], -v[249:250]
	v_add_f64 v[118:119], v[118:119], -v[247:248]
	s_waitcnt vmcnt(2)
	v_add_f64 v[110:111], v[110:111], -v[112:113]
	v_mul_f64 v[112:113], v[122:123], s[22:23]
	v_add_f64 v[110:111], v[20:21], v[110:111]
	s_waitcnt vmcnt(0)
	v_add_f64 v[112:113], v[112:113], -v[114:115]
	buffer_load_dword v114, off, s[60:63], 0 offset:468 ; 4-byte Folded Reload
	buffer_load_dword v115, off, s[60:63], 0 offset:472 ; 4-byte Folded Reload
	v_add_f64 v[110:111], v[112:113], v[110:111]
	v_mul_f64 v[112:113], v[156:157], s[4:5]
	v_add_f64 v[98:99], v[98:99], v[110:111]
	v_add_f64 v[112:113], v[112:113], -v[245:246]
	v_mul_f64 v[110:111], v[173:174], s[6:7]
	v_add_f64 v[98:99], v[112:113], v[98:99]
	v_mul_f64 v[112:113], v[104:105], s[6:7]
	v_add_f64 v[110:111], v[110:111], -v[253:254]
	v_add_f64 v[98:99], v[110:111], v[98:99]
	v_mul_f64 v[110:111], v[144:145], s[22:23]
	v_mul_f64 v[144:145], v[144:145], s[18:19]
	s_waitcnt vmcnt(0)
	v_add_f64 v[112:113], v[114:115], v[112:113]
	v_mul_f64 v[114:115], v[193:194], s[20:21]
	v_add_f64 v[112:113], v[22:23], v[112:113]
	v_add_f64 v[96:97], v[114:115], -v[96:97]
	v_mul_f64 v[114:115], v[126:127], s[18:19]
	v_mul_f64 v[126:127], v[126:127], s[8:9]
	v_add_f64 v[96:97], v[96:97], v[98:99]
	v_add_f64 v[114:115], v[18:19], v[114:115]
	buffer_load_dword v18, off, s[60:63], 0 offset:108 ; 4-byte Folded Reload
	buffer_load_dword v19, off, s[60:63], 0 offset:112 ; 4-byte Folded Reload
	v_mul_f64 v[98:99], v[104:105], s[4:5]
	v_mul_f64 v[104:105], v[104:105], s[10:11]
	v_add_f64 v[96:97], v[116:117], v[96:97]
	v_add_f64 v[112:113], v[114:115], v[112:113]
	v_mul_f64 v[114:115], v[161:162], s[16:17]
	v_mul_f64 v[116:117], v[156:157], s[16:17]
	;; [unrolled: 1-line block ×5, first 2 shown]
	s_waitcnt vmcnt(0)
	v_add_f64 v[110:111], v[18:19], v[110:111]
	buffer_load_dword v18, off, s[60:63], 0 offset:204 ; 4-byte Folded Reload
	buffer_load_dword v19, off, s[60:63], 0 offset:208 ; 4-byte Folded Reload
	v_add_f64 v[110:111], v[110:111], v[112:113]
	v_mul_f64 v[112:113], v[102:103], s[4:5]
	s_waitcnt vmcnt(0)
	v_add_f64 v[114:115], v[18:19], v[114:115]
	buffer_load_dword v18, off, s[60:63], 0 offset:252 ; 4-byte Folded Reload
	buffer_load_dword v19, off, s[60:63], 0 offset:256 ; 4-byte Folded Reload
	v_add_f64 v[110:111], v[114:115], v[110:111]
	v_mul_f64 v[114:115], v[102:103], s[10:11]
	v_mul_f64 v[102:103], v[102:103], s[6:7]
	s_waitcnt vmcnt(0)
	v_add_f64 v[124:125], v[18:19], v[124:125]
	buffer_load_dword v18, off, s[60:63], 0 offset:332 ; 4-byte Folded Reload
	buffer_load_dword v19, off, s[60:63], 0 offset:336 ; 4-byte Folded Reload
	v_add_f64 v[110:111], v[124:125], v[110:111]
	v_mul_f64 v[124:125], v[122:123], s[8:9]
	v_mul_f64 v[122:123], v[122:123], s[18:19]
	s_waitcnt vmcnt(0)
	v_add_f64 v[128:129], v[18:19], v[128:129]
	buffer_load_dword v18, off, s[60:63], 0 offset:300 ; 4-byte Folded Reload
	buffer_load_dword v19, off, s[60:63], 0 offset:304 ; 4-byte Folded Reload
	s_waitcnt vmcnt(0)
	v_add_f64 v[130:131], v[18:19], v[130:131]
	buffer_load_dword v18, off, s[60:63], 0 offset:164 ; 4-byte Folded Reload
	buffer_load_dword v19, off, s[60:63], 0 offset:168 ; 4-byte Folded Reload
	v_add_f64 v[110:111], v[130:131], v[110:111]
	v_mul_f64 v[130:131], v[223:224], s[20:21]
	v_add_f64 v[110:111], v[128:129], v[110:111]
	s_waitcnt vmcnt(0)
	v_add_f64 v[116:117], v[116:117], -v[18:19]
	buffer_load_dword v18, off, s[60:63], 0 offset:452 ; 4-byte Folded Reload
	buffer_load_dword v19, off, s[60:63], 0 offset:456 ; 4-byte Folded Reload
	s_waitcnt vmcnt(0)
	v_add_f64 v[102:103], v[102:103], -v[18:19]
	buffer_load_dword v18, off, s[60:63], 0 offset:436 ; 4-byte Folded Reload
	buffer_load_dword v19, off, s[60:63], 0 offset:440 ; 4-byte Folded Reload
	v_add_f64 v[102:103], v[20:21], v[102:103]
	s_waitcnt vmcnt(0)
	v_add_f64 v[104:105], v[18:19], v[104:105]
	buffer_load_dword v18, off, s[60:63], 0 offset:460 ; 4-byte Folded Reload
	buffer_load_dword v19, off, s[60:63], 0 offset:464 ; 4-byte Folded Reload
	v_add_f64 v[104:105], v[22:23], v[104:105]
	s_waitcnt vmcnt(0)
	v_add_f64 v[122:123], v[122:123], -v[18:19]
	buffer_load_dword v18, off, s[60:63], 0 offset:44 ; 4-byte Folded Reload
	buffer_load_dword v19, off, s[60:63], 0 offset:48 ; 4-byte Folded Reload
	v_add_f64 v[102:103], v[122:123], v[102:103]
	v_mul_f64 v[122:123], v[175:176], s[16:17]
	v_mul_f64 v[175:176], v[221:222], s[22:23]
	s_waitcnt vmcnt(0)
	v_add_f64 v[138:139], v[138:139], -v[18:19]
	buffer_load_dword v18, off, s[60:63], 0 offset:444 ; 4-byte Folded Reload
	buffer_load_dword v19, off, s[60:63], 0 offset:448 ; 4-byte Folded Reload
	v_add_f64 v[102:103], v[138:139], v[102:103]
	v_mul_f64 v[138:139], v[195:196], s[18:19]
	v_add_f64 v[102:103], v[116:117], v[102:103]
	v_mul_f64 v[116:117], v[207:208], s[6:7]
	s_waitcnt vmcnt(0)
	v_add_f64 v[126:127], v[18:19], v[126:127]
	buffer_load_dword v18, off, s[60:63], 0 offset:28 ; 4-byte Folded Reload
	buffer_load_dword v19, off, s[60:63], 0 offset:32 ; 4-byte Folded Reload
	v_add_f64 v[104:105], v[126:127], v[104:105]
	v_mul_f64 v[126:127], v[193:194], s[18:19]
	s_waitcnt vmcnt(0)
	v_add_f64 v[144:145], v[18:19], v[144:145]
	buffer_load_dword v18, off, s[60:63], 0 offset:92 ; 4-byte Folded Reload
	buffer_load_dword v19, off, s[60:63], 0 offset:96 ; 4-byte Folded Reload
	;; [unrolled: 6-line block ×3, first 2 shown]
	v_add_f64 v[104:105], v[152:153], v[104:105]
	v_mul_f64 v[152:153], v[223:224], s[22:23]
	s_waitcnt vmcnt(0)
	v_add_f64 v[161:162], v[161:162], -v[18:19]
	buffer_load_dword v18, off, s[60:63], 0 offset:180 ; 4-byte Folded Reload
	buffer_load_dword v19, off, s[60:63], 0 offset:184 ; 4-byte Folded Reload
	v_add_f64 v[102:103], v[161:162], v[102:103]
	s_waitcnt vmcnt(0)
	v_add_f64 v[158:159], v[18:19], v[158:159]
	buffer_load_dword v18, off, s[60:63], 0 offset:236 ; 4-byte Folded Reload
	buffer_load_dword v19, off, s[60:63], 0 offset:240 ; 4-byte Folded Reload
	v_add_f64 v[104:105], v[158:159], v[104:105]
	s_waitcnt vmcnt(0)
	v_add_f64 v[165:166], v[18:19], v[165:166]
	;; [unrolled: 5-line block ×3, first 2 shown]
	buffer_load_dword v18, off, s[60:63], 0 offset:244 ; 4-byte Folded Reload
	buffer_load_dword v19, off, s[60:63], 0 offset:248 ; 4-byte Folded Reload
	s_waitcnt vmcnt(0)
	v_add_f64 v[108:109], v[167:168], -v[18:19]
	buffer_load_dword v18, off, s[60:63], 0 offset:292 ; 4-byte Folded Reload
	buffer_load_dword v19, off, s[60:63], 0 offset:296 ; 4-byte Folded Reload
	v_add_f64 v[102:103], v[108:109], v[102:103]
	s_waitcnt vmcnt(0)
	v_add_f64 v[128:129], v[18:19], v[171:172]
	buffer_load_dword v18, off, s[60:63], 0 offset:316 ; 4-byte Folded Reload
	buffer_load_dword v19, off, s[60:63], 0 offset:320 ; 4-byte Folded Reload
	v_add_f64 v[104:105], v[128:129], v[104:105]
	s_waitcnt vmcnt(0)
	v_add_f64 v[66:67], v[181:182], -v[18:19]
	buffer_load_dword v18, off, s[60:63], 0 offset:276 ; 4-byte Folded Reload
	buffer_load_dword v19, off, s[60:63], 0 offset:280 ; 4-byte Folded Reload
	s_waitcnt vmcnt(0)
	v_add_f64 v[84:85], v[173:174], -v[18:19]
	buffer_load_dword v18, off, s[60:63], 0 offset:308 ; 4-byte Folded Reload
	buffer_load_dword v19, off, s[60:63], 0 offset:312 ; 4-byte Folded Reload
	s_waitcnt vmcnt(0)
	v_add_f64 v[108:109], v[18:19], v[179:180]
	buffer_load_dword v18, off, s[60:63], 0 offset:380 ; 4-byte Folded Reload
	buffer_load_dword v19, off, s[60:63], 0 offset:384 ; 4-byte Folded Reload
	s_waitcnt vmcnt(0)
	v_add_f64 v[98:99], v[18:19], v[98:99]
	buffer_load_dword v18, off, s[60:63], 0 offset:372 ; 4-byte Folded Reload
	buffer_load_dword v19, off, s[60:63], 0 offset:376 ; 4-byte Folded Reload
	v_add_f64 v[22:23], v[22:23], v[98:99]
	s_waitcnt vmcnt(0)
	v_add_f64 v[28:29], v[112:113], -v[18:19]
	buffer_load_dword v18, off, s[60:63], 0 offset:388 ; 4-byte Folded Reload
	buffer_load_dword v19, off, s[60:63], 0 offset:392 ; 4-byte Folded Reload
	v_add_f64 v[28:29], v[20:21], v[28:29]
	s_waitcnt vmcnt(0)
	v_add_f64 v[30:31], v[114:115], -v[18:19]
	;; [unrolled: 5-line block ×3, first 2 shown]
	buffer_load_dword v18, off, s[60:63], 0 offset:404 ; 4-byte Folded Reload
	buffer_load_dword v19, off, s[60:63], 0 offset:408 ; 4-byte Folded Reload
	v_add_f64 v[20:21], v[112:113], v[20:21]
	s_waitcnt vmcnt(0)
	v_add_f64 v[114:115], v[18:19], v[134:135]
	buffer_load_dword v18, off, s[60:63], 0 offset:396 ; 4-byte Folded Reload
	buffer_load_dword v19, off, s[60:63], 0 offset:400 ; 4-byte Folded Reload
	v_add_f64 v[22:23], v[114:115], v[22:23]
	s_waitcnt vmcnt(0)
	v_add_f64 v[98:99], v[132:133], -v[18:19]
	buffer_load_dword v18, off, s[60:63], 0 offset:428 ; 4-byte Folded Reload
	buffer_load_dword v19, off, s[60:63], 0 offset:432 ; 4-byte Folded Reload
	v_add_f64 v[28:29], v[98:99], v[28:29]
	s_waitcnt vmcnt(0)
	v_add_f64 v[30:31], v[142:143], -v[18:19]
	buffer_load_dword v18, off, s[60:63], 0 offset:420 ; 4-byte Folded Reload
	buffer_load_dword v19, off, s[60:63], 0 offset:424 ; 4-byte Folded Reload
	v_add_f64 v[20:21], v[30:31], v[20:21]
	s_waitcnt vmcnt(0)
	v_add_f64 v[40:41], v[18:19], v[140:141]
	buffer_load_dword v18, off, s[60:63], 0 offset:364 ; 4-byte Folded Reload
	buffer_load_dword v19, off, s[60:63], 0 offset:368 ; 4-byte Folded Reload
	v_add_f64 v[22:23], v[40:41], v[22:23]
	s_waitcnt vmcnt(0)
	v_add_f64 v[42:43], v[136:137], -v[18:19]
	buffer_load_dword v18, off, s[60:63], 0 offset:12 ; 4-byte Folded Reload
	buffer_load_dword v19, off, s[60:63], 0 offset:16 ; 4-byte Folded Reload
	v_add_f64 v[28:29], v[42:43], v[28:29]
	v_add_f64 v[42:43], v[58:59], v[26:27]
	;; [unrolled: 1-line block ×3, first 2 shown]
	s_waitcnt vmcnt(0)
	v_add_f64 v[44:45], v[150:151], -v[18:19]
	buffer_load_dword v18, off, s[60:63], 0 offset:4 ; 4-byte Folded Reload
	buffer_load_dword v19, off, s[60:63], 0 offset:8 ; 4-byte Folded Reload
	v_add_f64 v[20:21], v[44:45], v[20:21]
	s_waitcnt vmcnt(0)
	v_add_f64 v[46:47], v[18:19], v[148:149]
	buffer_load_dword v18, off, s[60:63], 0 offset:492 ; 4-byte Folded Reload
	buffer_load_dword v19, off, s[60:63], 0 offset:496 ; 4-byte Folded Reload
	v_add_f64 v[22:23], v[46:47], v[22:23]
	s_waitcnt vmcnt(0)
	v_add_f64 v[40:41], v[146:147], -v[18:19]
	buffer_load_dword v18, off, s[60:63], 0 offset:76 ; 4-byte Folded Reload
	buffer_load_dword v19, off, s[60:63], 0 offset:80 ; 4-byte Folded Reload
	v_add_f64 v[28:29], v[40:41], v[28:29]
	s_waitcnt vmcnt(0)
	v_add_f64 v[30:31], v[156:157], -v[18:19]
	buffer_load_dword v18, off, s[60:63], 0 offset:60 ; 4-byte Folded Reload
	buffer_load_dword v19, off, s[60:63], 0 offset:64 ; 4-byte Folded Reload
	v_add_f64 v[20:21], v[30:31], v[20:21]
	s_waitcnt vmcnt(0)
	v_add_f64 v[32:33], v[18:19], v[122:123]
	buffer_load_dword v18, off, s[60:63], 0 offset:52 ; 4-byte Folded Reload
	buffer_load_dword v19, off, s[60:63], 0 offset:56 ; 4-byte Folded Reload
	v_add_f64 v[22:23], v[32:33], v[22:23]
	s_waitcnt vmcnt(0)
	v_add_f64 v[34:35], v[154:155], -v[18:19]
	buffer_load_dword v18, off, s[60:63], 0 offset:148 ; 4-byte Folded Reload
	buffer_load_dword v19, off, s[60:63], 0 offset:152 ; 4-byte Folded Reload
	v_add_f64 v[28:29], v[34:35], v[28:29]
	;; [unrolled: 15-line block ×3, first 2 shown]
	s_waitcnt vmcnt(0)
	v_add_f64 v[30:31], v[116:117], -v[18:19]
	buffer_load_dword v18, off, s[60:63], 0 offset:220 ; 4-byte Folded Reload
	buffer_load_dword v19, off, s[60:63], 0 offset:224 ; 4-byte Folded Reload
	v_add_f64 v[20:21], v[30:31], v[20:21]
	s_waitcnt vmcnt(0)
	v_add_f64 v[34:35], v[18:19], v[169:170]
	buffer_load_dword v18, off, s[60:63], 0 offset:212 ; 4-byte Folded Reload
	buffer_load_dword v19, off, s[60:63], 0 offset:216 ; 4-byte Folded Reload
	v_add_f64 v[34:35], v[34:35], v[22:23]
	v_add_f64 v[22:23], v[100:101], v[110:111]
	s_waitcnt vmcnt(0)
	v_add_f64 v[38:39], v[144:145], -v[18:19]
	buffer_load_dword v18, off, s[60:63], 0 offset:284 ; 4-byte Folded Reload
	buffer_load_dword v19, off, s[60:63], 0 offset:288 ; 4-byte Folded Reload
	v_add_f64 v[28:29], v[38:39], v[28:29]
	v_add_f64 v[38:39], v[84:85], v[102:103]
	;; [unrolled: 1-line block ×3, first 2 shown]
	s_waitcnt vmcnt(0)
	v_add_f64 v[36:37], v[177:178], -v[18:19]
	buffer_load_dword v18, off, s[60:63], 0 offset:268 ; 4-byte Folded Reload
	buffer_load_dword v19, off, s[60:63], 0 offset:272 ; 4-byte Folded Reload
	s_waitcnt vmcnt(0)
	v_add_f64 v[32:33], v[18:19], v[152:153]
	buffer_load_dword v18, off, s[60:63], 0 offset:260 ; 4-byte Folded Reload
	buffer_load_dword v19, off, s[60:63], 0 offset:264 ; 4-byte Folded Reload
	v_add_f64 v[30:31], v[32:33], v[34:35]
	v_add_f64 v[34:35], v[62:63], v[42:43]
	;; [unrolled: 1-line block ×6, first 2 shown]
	s_waitcnt vmcnt(0)
	v_add_f64 v[40:41], v[175:176], -v[18:19]
	v_add_f64 v[28:29], v[40:41], v[28:29]
	ds_write_b128 v0, v[32:35]
	ds_write_b128 v0, v[28:31] offset:16
	ds_write_b128 v0, v[24:27] offset:32
	;; [unrolled: 1-line block ×16, first 2 shown]
.LBB0_7:
	s_or_b64 exec, exec, s[28:29]
	s_load_dwordx4 s[4:7], s[0:1], 0x0
	v_mad_u64_u32 v[93:94], s[0:1], v227, 48, s[2:3]
	v_add_co_u32_e64 v60, s[0:1], 34, v227
	s_movk_i32 s0, 0xf1
	v_mul_lo_u16_sdwa v0, v60, s0 dst_sel:DWORD dst_unused:UNUSED_PAD src0_sel:BYTE_0 src1_sel:DWORD
	v_lshrrev_b16_e32 v0, 12, v0
	v_mul_lo_u16_e32 v0, 17, v0
	v_sub_u16_e32 v0, v60, v0
	v_and_b32_e32 v0, 0xff, v0
	v_mad_u64_u32 v[44:45], s[0:1], v0, 48, s[2:3]
	s_waitcnt lgkmcnt(0)
	s_barrier
	global_load_dwordx4 v[20:23], v[93:94], off offset:16
	global_load_dwordx4 v[24:27], v[93:94], off
	global_load_dwordx4 v[40:43], v[93:94], off offset:32
	global_load_dwordx4 v[36:39], v[44:45], off
	global_load_dwordx4 v[32:35], v[44:45], off offset:16
	global_load_dwordx4 v[161:164], v[44:45], off offset:32
	buffer_load_dword v1, off, s[60:63], 0  ; 4-byte Folded Reload
	v_lshl_add_u32 v229, v227, 4, v255
	s_waitcnt vmcnt(0)
	v_add_lshl_u32 v225, v1, v227, 4
	ds_read_b128 v[44:47], v225
	ds_read_b128 v[48:51], v225 offset:272
	ds_read_b128 v[52:55], v225 offset:1632
	ds_read_b128 v[56:59], v225 offset:1904
	ds_read_b128 v[61:64], v225 offset:816
	ds_read_b128 v[65:68], v225 offset:544
	ds_read_b128 v[69:72], v225 offset:1088
	ds_read_b128 v[73:76], v225 offset:1360
	ds_read_b128 v[77:80], v225 offset:2448
	ds_read_b128 v[81:84], v225 offset:2176
	ds_read_b128 v[85:88], v225 offset:2720
	ds_read_b128 v[89:92], v225 offset:2992
	s_waitcnt lgkmcnt(7)
	v_mul_f64 v[95:96], v[63:64], v[26:27]
	v_mul_f64 v[97:98], v[61:62], v[26:27]
	v_mul_f64 v[99:100], v[54:55], v[22:23]
	v_mul_f64 v[101:102], v[52:53], v[22:23]
	s_waitcnt lgkmcnt(3)
	v_mul_f64 v[103:104], v[79:80], v[42:43]
	v_mul_f64 v[105:106], v[77:78], v[42:43]
	v_mul_f64 v[107:108], v[71:72], v[26:27]
	v_mul_f64 v[109:110], v[69:70], v[26:27]
	v_mul_f64 v[111:112], v[58:59], v[22:23]
	v_mul_f64 v[113:114], v[56:57], v[22:23]
	s_waitcnt lgkmcnt(1)
	v_mul_f64 v[115:116], v[87:88], v[42:43]
	v_mul_f64 v[117:118], v[85:86], v[42:43]
	;; [unrolled: 7-line block ×3, first 2 shown]
	v_fma_f64 v[61:62], v[61:62], v[24:25], -v[95:96]
	v_fma_f64 v[63:64], v[63:64], v[24:25], v[97:98]
	v_fma_f64 v[52:53], v[52:53], v[20:21], -v[99:100]
	v_fma_f64 v[54:55], v[54:55], v[20:21], v[101:102]
	v_fma_f64 v[77:78], v[77:78], v[40:41], -v[103:104]
	v_fma_f64 v[79:80], v[79:80], v[40:41], v[105:106]
	v_fma_f64 v[69:70], v[69:70], v[24:25], -v[107:108]
	v_fma_f64 v[71:72], v[71:72], v[24:25], v[109:110]
	v_fma_f64 v[56:57], v[56:57], v[20:21], -v[111:112]
	v_fma_f64 v[58:59], v[58:59], v[20:21], v[113:114]
	v_fma_f64 v[85:86], v[85:86], v[40:41], -v[115:116]
	v_fma_f64 v[87:88], v[87:88], v[40:41], v[117:118]
	v_fma_f64 v[73:74], v[73:74], v[36:37], -v[119:120]
	v_fma_f64 v[75:76], v[75:76], v[36:37], v[121:122]
	v_fma_f64 v[81:82], v[81:82], v[32:33], -v[123:124]
	v_fma_f64 v[83:84], v[83:84], v[32:33], v[125:126]
	v_fma_f64 v[89:90], v[89:90], v[161:162], -v[127:128]
	v_fma_f64 v[91:92], v[91:92], v[161:162], v[129:130]
	v_add_f64 v[95:96], v[44:45], -v[52:53]
	v_add_f64 v[97:98], v[46:47], -v[54:55]
	;; [unrolled: 1-line block ×12, first 2 shown]
	v_fma_f64 v[89:90], v[44:45], 2.0, -v[95:96]
	v_fma_f64 v[91:92], v[46:47], 2.0, -v[97:98]
	;; [unrolled: 1-line block ×8, first 2 shown]
	v_add_f64 v[44:45], v[95:96], -v[54:55]
	v_add_f64 v[46:47], v[97:98], v[52:53]
	v_fma_f64 v[103:104], v[65:66], 2.0, -v[81:82]
	v_fma_f64 v[105:106], v[67:68], 2.0, -v[83:84]
	;; [unrolled: 1-line block ×4, first 2 shown]
	v_add_f64 v[48:49], v[77:78], -v[58:59]
	v_add_f64 v[50:51], v[79:80], v[56:57]
	v_add_f64 v[56:57], v[89:90], -v[61:62]
	v_add_f64 v[58:59], v[91:92], -v[63:64]
	;; [unrolled: 1-line block ×5, first 2 shown]
	v_add_f64 v[54:55], v[83:84], v[85:86]
	s_barrier
	v_fma_f64 v[61:62], v[95:96], 2.0, -v[44:45]
	v_fma_f64 v[63:64], v[97:98], 2.0, -v[46:47]
	ds_write_b128 v225, v[44:47] offset:816
	ds_write_b128 v225, v[48:51] offset:1904
	v_add_f64 v[44:45], v[103:104], -v[73:74]
	v_add_f64 v[46:47], v[105:106], -v[75:76]
	v_fma_f64 v[69:70], v[77:78], 2.0, -v[48:49]
	v_fma_f64 v[71:72], v[79:80], 2.0, -v[50:51]
	;; [unrolled: 1-line block ×8, first 2 shown]
	ds_write_b128 v225, v[61:64] offset:272
	ds_write_b128 v225, v[56:59] offset:544
	v_fma_f64 v[56:57], v[103:104], 2.0, -v[44:45]
	v_fma_f64 v[58:59], v[105:106], 2.0, -v[46:47]
	v_add_lshl_u32 v224, v1, v0, 4
	ds_write_b128 v225, v[69:72] offset:1360
	ds_write_b128 v225, v[65:68] offset:1632
	ds_write_b128 v225, v[73:76]
	ds_write_b128 v225, v[77:80] offset:1088
	ds_write_b128 v224, v[48:51] offset:2448
	;; [unrolled: 1-line block ×5, first 2 shown]
	v_sub_co_u32_e64 v44, s[0:1], v93, v160
	v_lshlrev_b32_e32 v0, 5, v227
	v_subbrev_co_u32_e64 v45, s[0:1], 0, v94, s[0:1]
	v_add_u32_e32 v1, 0x220, v0
	s_waitcnt lgkmcnt(0)
	s_barrier
	global_load_dwordx4 v[48:51], v[44:45], off offset:816
	s_nop 0
	global_load_dwordx4 v[44:47], v[44:45], off offset:832
	s_nop 0
	global_load_dwordx4 v[56:59], v1, s[2:3] offset:816
	global_load_dwordx4 v[52:55], v1, s[2:3] offset:832
	v_lshlrev_b32_e32 v1, 5, v60
	v_add_u32_e32 v0, 0x660, v0
	global_load_dwordx4 v[64:67], v1, s[2:3] offset:816
	global_load_dwordx4 v[60:63], v1, s[2:3] offset:832
	global_load_dwordx4 v[72:75], v0, s[2:3] offset:816
	global_load_dwordx4 v[68:71], v0, s[2:3] offset:832
	ds_read_b128 v[78:81], v225
	ds_read_b128 v[82:85], v225 offset:272
	ds_read_b128 v[86:89], v225 offset:1088
	;; [unrolled: 1-line block ×11, first 2 shown]
	s_mov_b32 s0, 0xe8584caa
	s_mov_b32 s1, 0x3febb67a
	;; [unrolled: 1-line block ×4, first 2 shown]
	s_waitcnt vmcnt(7) lgkmcnt(9)
	v_mul_f64 v[76:77], v[88:89], v[50:51]
	v_mul_f64 v[126:127], v[86:87], v[50:51]
	s_waitcnt vmcnt(6) lgkmcnt(7)
	v_mul_f64 v[128:129], v[96:97], v[46:47]
	v_mul_f64 v[130:131], v[94:95], v[46:47]
	s_waitcnt vmcnt(5)
	v_mul_f64 v[132:133], v[92:93], v[58:59]
	v_mul_f64 v[134:135], v[90:91], v[58:59]
	s_waitcnt vmcnt(4) lgkmcnt(6)
	v_mul_f64 v[136:137], v[100:101], v[54:55]
	v_mul_f64 v[138:139], v[98:99], v[54:55]
	s_waitcnt vmcnt(3) lgkmcnt(3)
	;; [unrolled: 3-line block ×3, first 2 shown]
	v_mul_f64 v[144:145], v[120:121], v[62:63]
	v_mul_f64 v[146:147], v[118:119], v[62:63]
	s_waitcnt vmcnt(1)
	v_mul_f64 v[148:149], v[116:117], v[74:75]
	v_mul_f64 v[150:151], v[114:115], v[74:75]
	s_waitcnt vmcnt(0) lgkmcnt(0)
	v_mul_f64 v[152:153], v[124:125], v[70:71]
	v_mul_f64 v[154:155], v[122:123], v[70:71]
	v_fma_f64 v[76:77], v[86:87], v[48:49], -v[76:77]
	v_fma_f64 v[86:87], v[88:89], v[48:49], v[126:127]
	v_fma_f64 v[88:89], v[94:95], v[44:45], -v[128:129]
	v_fma_f64 v[94:95], v[96:97], v[44:45], v[130:131]
	;; [unrolled: 2-line block ×8, first 2 shown]
	v_add_f64 v[124:125], v[78:79], v[76:77]
	v_add_f64 v[126:127], v[76:77], v[88:89]
	v_add_f64 v[128:129], v[86:87], -v[94:95]
	v_add_f64 v[130:131], v[80:81], v[86:87]
	v_add_f64 v[86:87], v[86:87], v[94:95]
	;; [unrolled: 1-line block ×4, first 2 shown]
	v_add_f64 v[138:139], v[92:93], -v[98:99]
	v_add_f64 v[140:141], v[84:85], v[92:93]
	v_add_f64 v[92:93], v[92:93], v[98:99]
	v_add_f64 v[142:143], v[90:91], -v[96:97]
	v_add_f64 v[90:91], v[102:103], v[100:101]
	v_add_f64 v[144:145], v[100:101], v[112:113]
	;; [unrolled: 3-line block ×3, first 2 shown]
	v_add_f64 v[150:151], v[100:101], -v[112:113]
	v_add_f64 v[100:101], v[114:115], v[120:121]
	v_add_f64 v[154:155], v[116:117], -v[122:123]
	v_add_f64 v[156:157], v[108:109], v[116:117]
	v_add_f64 v[116:117], v[116:117], v[122:123]
	v_add_f64 v[132:133], v[76:77], -v[88:89]
	v_add_f64 v[152:153], v[106:107], v[114:115]
	v_add_f64 v[158:159], v[114:115], -v[120:121]
	v_add_f64 v[76:77], v[124:125], v[88:89]
	v_fma_f64 v[88:89], v[126:127], -0.5, v[78:79]
	v_add_f64 v[78:79], v[130:131], v[94:95]
	v_fma_f64 v[114:115], v[86:87], -0.5, v[80:81]
	v_fma_f64 v[124:125], v[136:137], -0.5, v[82:83]
	;; [unrolled: 1-line block ×3, first 2 shown]
	v_add_f64 v[92:93], v[90:91], v[112:113]
	v_fma_f64 v[112:113], v[144:145], -0.5, v[102:103]
	v_add_f64 v[94:95], v[148:149], v[118:119]
	v_fma_f64 v[110:111], v[110:111], -0.5, v[104:105]
	v_fma_f64 v[118:119], v[100:101], -0.5, v[106:107]
	;; [unrolled: 1-line block ×3, first 2 shown]
	v_add_f64 v[80:81], v[134:135], v[96:97]
	v_add_f64 v[82:83], v[140:141], v[98:99]
	v_fma_f64 v[84:85], v[128:129], s[0:1], v[88:89]
	v_fma_f64 v[88:89], v[128:129], s[2:3], v[88:89]
	;; [unrolled: 1-line block ×12, first 2 shown]
	v_add_f64 v[112:113], v[152:153], v[120:121]
	v_fma_f64 v[116:117], v[154:155], s[0:1], v[118:119]
	v_fma_f64 v[120:121], v[154:155], s[2:3], v[118:119]
	v_add_f64 v[114:115], v[156:157], v[122:123]
	v_fma_f64 v[118:119], v[158:159], s[2:3], v[130:131]
	v_fma_f64 v[122:123], v[158:159], s[0:1], v[130:131]
	v_add_u32_e32 v124, v160, v255
	ds_write_b128 v229, v[76:79]
	ds_write_b128 v229, v[84:87] offset:1088
	ds_write_b128 v229, v[88:91] offset:2176
	;; [unrolled: 1-line block ×11, first 2 shown]
	s_waitcnt lgkmcnt(0)
	s_barrier
	s_and_saveexec_b64 s[0:1], vcc
	s_cbranch_execz .LBB0_9
; %bb.8:
	global_load_dwordx4 v[129:132], v160, s[12:13] offset:3264
	ds_read_b128 v[125:128], v229
	s_add_u32 s2, s12, 0xcc0
	s_addc_u32 s3, s13, 0
	s_waitcnt vmcnt(0) lgkmcnt(0)
	v_mul_f64 v[133:134], v[127:128], v[131:132]
	v_fma_f64 v[133:134], v[125:126], v[129:130], -v[133:134]
	v_mul_f64 v[125:126], v[125:126], v[131:132]
	v_fma_f64 v[135:136], v[127:128], v[129:130], v[125:126]
	global_load_dwordx4 v[129:132], v160, s[2:3] offset:192
	ds_read_b128 v[125:128], v229 offset:192
	ds_write_b128 v229, v[133:136]
	s_waitcnt vmcnt(0) lgkmcnt(1)
	v_mul_f64 v[133:134], v[127:128], v[131:132]
	v_fma_f64 v[133:134], v[125:126], v[129:130], -v[133:134]
	v_mul_f64 v[125:126], v[125:126], v[131:132]
	v_fma_f64 v[135:136], v[127:128], v[129:130], v[125:126]
	global_load_dwordx4 v[129:132], v160, s[2:3] offset:384
	ds_read_b128 v[125:128], v229 offset:384
	ds_write_b128 v229, v[133:136] offset:192
	s_waitcnt vmcnt(0) lgkmcnt(1)
	v_mul_f64 v[133:134], v[127:128], v[131:132]
	v_fma_f64 v[133:134], v[125:126], v[129:130], -v[133:134]
	v_mul_f64 v[125:126], v[125:126], v[131:132]
	v_fma_f64 v[135:136], v[127:128], v[129:130], v[125:126]
	global_load_dwordx4 v[129:132], v160, s[2:3] offset:576
	ds_read_b128 v[125:128], v229 offset:576
	ds_write_b128 v229, v[133:136] offset:384
	;; [unrolled: 8-line block ×15, first 2 shown]
	s_waitcnt vmcnt(0) lgkmcnt(1)
	v_mul_f64 v[133:134], v[127:128], v[131:132]
	v_fma_f64 v[133:134], v[125:126], v[129:130], -v[133:134]
	v_mul_f64 v[125:126], v[125:126], v[131:132]
	v_fma_f64 v[135:136], v[127:128], v[129:130], v[125:126]
	ds_write_b128 v229, v[133:136] offset:3072
.LBB0_9:
	s_or_b64 exec, exec, s[0:1]
	s_waitcnt lgkmcnt(0)
	s_barrier
	s_and_saveexec_b64 s[0:1], vcc
	s_cbranch_execz .LBB0_11
; %bb.10:
	ds_read_b128 v[76:79], v229
	ds_read_b128 v[84:87], v229 offset:192
	ds_read_b128 v[88:91], v229 offset:384
	ds_read_b128 v[80:83], v229 offset:576
	ds_read_b128 v[96:99], v229 offset:768
	ds_read_b128 v[100:103], v229 offset:960
	ds_read_b128 v[92:95], v229 offset:1152
	ds_read_b128 v[104:107], v229 offset:1344
	ds_read_b128 v[108:111], v229 offset:1536
	ds_read_b128 v[112:115], v229 offset:1728
	ds_read_b128 v[116:119], v229 offset:1920
	ds_read_b128 v[120:123], v229 offset:2112
	ds_read_b128 v[14:17], v229 offset:2304
	ds_read_b128 v[10:13], v229 offset:2496
	ds_read_b128 v[6:9], v229 offset:2688
	ds_read_b128 v[2:5], v229 offset:2880
	ds_read_b128 v[184:187], v229 offset:3072
.LBB0_11:
	s_or_b64 exec, exec, s[0:1]
	v_add_u32_e32 v125, 0x220, v124
	v_add_u32_e32 v124, 0x330, v124
	s_waitcnt lgkmcnt(0)
	s_barrier
	s_and_saveexec_b64 s[0:1], vcc
	s_cbranch_execz .LBB0_13
; %bb.12:
	v_add_f64 v[203:204], v[84:85], -v[184:185]
	s_mov_b32 s16, 0xacd6c6b4
	s_mov_b32 s17, 0xbfc7851a
	v_add_f64 v[165:166], v[88:89], -v[2:3]
	v_add_f64 v[179:180], v[186:187], v[86:87]
	s_mov_b32 s38, 0x5d8e7cdc
	s_mov_b32 s2, 0x7faef3
	v_add_f64 v[0:1], v[108:109], -v[112:113]
	v_mul_f64 v[126:127], v[203:204], s[16:17]
	buffer_store_dword v161, off, s[60:63], 0 offset:12 ; 4-byte Folded Spill
	s_nop 0
	buffer_store_dword v162, off, s[60:63], 0 offset:16 ; 4-byte Folded Spill
	buffer_store_dword v163, off, s[60:63], 0 offset:20 ; 4-byte Folded Spill
	;; [unrolled: 1-line block ×6, first 2 shown]
	s_nop 0
	buffer_store_dword v33, off, s[60:63], 0 offset:32 ; 4-byte Folded Spill
	buffer_store_dword v34, off, s[60:63], 0 offset:36 ; 4-byte Folded Spill
	;; [unrolled: 1-line block ×3, first 2 shown]
	s_mov_b32 s39, 0x3fd71e95
	s_mov_b32 s3, 0xbfef7484
	v_add_f64 v[32:33], v[80:81], -v[6:7]
	v_mul_f64 v[128:129], v[165:166], s[38:39]
	v_add_f64 v[175:176], v[4:5], v[90:91]
	v_fma_f64 v[130:131], v[179:180], s[2:3], v[126:127]
	s_mov_b32 s50, 0xeb564b22
	s_mov_b32 s22, 0x4363dd80
	;; [unrolled: 1-line block ×4, first 2 shown]
	v_mov_b32_e32 v29, v1
	s_mov_b32 s23, 0xbfe0d888
	s_mov_b32 s19, 0x3fedd6d0
	v_mul_f64 v[124:125], v[0:1], s[50:51]
	v_mov_b32_e32 v28, v0
	v_add_f64 v[0:1], v[96:97], -v[10:11]
	v_mul_f64 v[132:133], v[32:33], s[22:23]
	v_add_f64 v[177:178], v[82:83], v[8:9]
	v_fma_f64 v[134:135], v[175:176], s[18:19], v[128:129]
	v_add_f64 v[130:131], v[78:79], v[130:131]
	s_mov_b32 s46, 0x2a9d6da3
	s_mov_b32 s8, 0x910ea3b9
	v_add_f64 v[140:141], v[100:101], -v[14:15]
	s_mov_b32 s47, 0x3fe58eea
	s_mov_b32 s9, 0xbfeb34fa
	v_mul_f64 v[136:137], v[0:1], s[46:47]
	v_add_f64 v[173:174], v[98:99], v[12:13]
	v_fma_f64 v[138:139], v[177:178], s[8:9], v[132:133]
	v_add_f64 v[130:131], v[134:135], v[130:131]
	v_mov_b32_e32 v164, v33
	s_mov_b32 s24, 0x6c9a05f6
	s_mov_b32 s20, 0x75d4884
	v_mov_b32_e32 v163, v32
	s_mov_b32 s25, 0xbfe9895b
	v_mov_b32_e32 v32, v140
	s_mov_b32 s21, 0x3fe7a5f6
	v_add_f64 v[30:31], v[92:93], -v[120:121]
	v_mul_f64 v[134:135], v[140:141], s[24:25]
	v_mov_b32_e32 v33, v141
	v_add_f64 v[171:172], v[16:17], v[102:103]
	v_fma_f64 v[140:141], v[173:174], s[20:21], v[136:137]
	v_add_f64 v[130:131], v[138:139], v[130:131]
	s_mov_b32 s42, 0x7c9e640b
	s_mov_b32 s10, 0x6ed5f1bb
	s_mov_b32 s43, 0x3feca52d
	s_mov_b32 s11, 0xbfe348c8
	v_mul_f64 v[138:139], v[30:31], s[42:43]
	v_add_f64 v[169:170], v[122:123], v[94:95]
	v_fma_f64 v[142:143], v[171:172], s[10:11], v[134:135]
	v_add_f64 v[130:131], v[140:141], v[130:131]
	v_add_f64 v[146:147], v[86:87], -v[186:187]
	s_mov_b32 s34, 0x2b2883cd
	v_mov_b32_e32 v35, v1
	s_mov_b32 s35, 0x3fdc86fa
	v_mov_b32_e32 v34, v0
	v_fma_f64 v[144:145], v[169:170], s[34:35], v[138:139]
	v_add_f64 v[0:1], v[90:91], -v[4:5]
	v_add_f64 v[130:131], v[142:143], v[130:131]
	v_add_f64 v[191:192], v[184:185], v[84:85]
	v_mul_f64 v[142:143], v[146:147], s[16:17]
	v_add_f64 v[152:153], v[82:83], -v[8:9]
	v_add_f64 v[189:190], v[2:3], v[88:89]
	buffer_store_dword v184, off, s[60:63], 0 offset:60 ; 4-byte Folded Spill
	s_nop 0
	buffer_store_dword v185, off, s[60:63], 0 offset:64 ; 4-byte Folded Spill
	buffer_store_dword v186, off, s[60:63], 0 offset:68 ; 4-byte Folded Spill
	;; [unrolled: 1-line block ×3, first 2 shown]
	v_add_f64 v[156:157], v[98:99], -v[12:13]
	v_fma_f64 v[126:127], v[179:180], s[2:3], -v[126:127]
	v_add_f64 v[130:131], v[144:145], v[130:131]
	v_mul_f64 v[144:145], v[0:1], s[38:39]
	v_fma_f64 v[148:149], v[191:192], s[2:3], -v[142:143]
	v_mov_b32_e32 v185, v153
	v_add_f64 v[199:200], v[80:81], v[6:7]
	v_mul_f64 v[150:151], v[152:153], s[22:23]
	v_mov_b32_e32 v184, v152
	v_mov_b32_e32 v196, v157
	v_fma_f64 v[128:129], v[175:176], s[18:19], -v[128:129]
	v_fma_f64 v[152:153], v[189:190], s[18:19], -v[144:145]
	v_add_f64 v[148:149], v[76:77], v[148:149]
	v_add_f64 v[126:127], v[78:79], v[126:127]
	v_add_f64 v[187:188], v[102:103], -v[16:17]
	v_fma_f64 v[142:143], v[191:192], s[2:3], v[142:143]
	v_add_f64 v[213:214], v[96:97], v[10:11]
	v_mul_f64 v[154:155], v[156:157], s[46:47]
	v_mov_b32_e32 v195, v156
	v_fma_f64 v[156:157], v[199:200], s[8:9], -v[150:151]
	v_add_f64 v[148:149], v[152:153], v[148:149]
	v_add_f64 v[197:198], v[94:95], -v[122:123]
	v_fma_f64 v[132:133], v[177:178], s[8:9], -v[132:133]
	v_add_f64 v[126:127], v[128:129], v[126:127]
	v_fma_f64 v[128:129], v[189:190], s[18:19], v[144:145]
	v_add_f64 v[142:143], v[76:77], v[142:143]
	v_add_f64 v[211:212], v[14:15], v[100:101]
	v_mul_f64 v[144:145], v[187:188], s[24:25]
	v_fma_f64 v[152:153], v[213:214], s[20:21], -v[154:155]
	v_add_f64 v[148:149], v[156:157], v[148:149]
	v_mov_b32_e32 v194, v1
	v_add_f64 v[18:19], v[104:105], -v[116:117]
	v_mov_b32_e32 v193, v0
	v_add_f64 v[0:1], v[106:107], -v[118:119]
	v_fma_f64 v[136:137], v[173:174], s[20:21], -v[136:137]
	v_add_f64 v[126:127], v[132:133], v[126:127]
	v_fma_f64 v[132:133], v[199:200], s[8:9], v[150:151]
	v_add_f64 v[128:129], v[128:129], v[142:143]
	v_add_f64 v[209:210], v[120:121], v[92:93]
	v_mul_f64 v[142:143], v[197:198], s[42:43]
	v_fma_f64 v[150:151], v[211:212], s[10:11], -v[144:145]
	v_add_f64 v[148:149], v[152:153], v[148:149]
	s_mov_b32 s26, 0x923c349f
	s_mov_b32 s27, 0xbfeec746
	v_mul_f64 v[140:141], v[18:19], s[26:27]
	v_add_f64 v[167:168], v[106:107], v[118:119]
	v_add_f64 v[158:159], v[110:111], -v[114:115]
	v_fma_f64 v[134:135], v[171:172], s[10:11], -v[134:135]
	v_add_f64 v[126:127], v[136:137], v[126:127]
	v_fma_f64 v[136:137], v[213:214], s[20:21], v[154:155]
	v_add_f64 v[128:129], v[132:133], v[128:129]
	v_add_f64 v[207:208], v[104:105], v[116:117]
	v_mul_f64 v[132:133], v[0:1], s[26:27]
	v_fma_f64 v[152:153], v[209:210], s[34:35], -v[142:143]
	v_add_f64 v[148:149], v[150:151], v[148:149]
	s_mov_b32 s28, 0xc61f0d01
	v_mov_b32_e32 v182, v147
	s_mov_b32 s29, 0xbfd183b1
	v_add_f64 v[161:162], v[110:111], v[114:115]
	v_mov_b32_e32 v181, v146
	v_fma_f64 v[146:147], v[167:168], s[28:29], v[140:141]
	v_fma_f64 v[138:139], v[169:170], s[34:35], -v[138:139]
	v_add_f64 v[126:127], v[134:135], v[126:127]
	v_fma_f64 v[134:135], v[211:212], s[10:11], v[144:145]
	v_add_f64 v[128:129], v[136:137], v[128:129]
	v_add_f64 v[205:206], v[108:109], v[112:113]
	v_mul_f64 v[136:137], v[158:159], s[50:51]
	v_fma_f64 v[144:145], v[207:208], s[28:29], -v[132:133]
	v_add_f64 v[148:149], v[152:153], v[148:149]
	s_mov_b32 s30, 0x3259b75e
	s_mov_b32 s31, 0x3fb79ee6
	v_fma_f64 v[140:141], v[167:168], s[28:29], -v[140:141]
	v_add_f64 v[126:127], v[138:139], v[126:127]
	v_fma_f64 v[138:139], v[209:210], s[34:35], v[142:143]
	v_add_f64 v[128:129], v[134:135], v[128:129]
	v_fma_f64 v[134:135], v[161:162], s[30:31], v[124:125]
	v_add_f64 v[130:131], v[146:147], v[130:131]
	v_fma_f64 v[142:143], v[205:206], s[30:31], -v[136:137]
	v_add_f64 v[144:145], v[144:145], v[148:149]
	v_fma_f64 v[146:147], v[161:162], s[30:31], -v[124:125]
	v_add_f64 v[140:141], v[140:141], v[126:127]
	v_mul_f64 v[150:151], v[165:166], s[42:43]
	v_mul_f64 v[156:157], v[181:182], s[22:23]
	v_mov_b32_e32 v202, v159
	v_add_f64 v[126:127], v[134:135], v[130:131]
	s_mov_b32 s41, 0xbfefdd0d
	v_add_f64 v[124:125], v[142:143], v[144:145]
	buffer_store_dword v124, off, s[60:63], 0 offset:76 ; 4-byte Folded Spill
	s_nop 0
	buffer_store_dword v125, off, s[60:63], 0 offset:80 ; 4-byte Folded Spill
	buffer_store_dword v126, off, s[60:63], 0 offset:84 ; 4-byte Folded Spill
	;; [unrolled: 1-line block ×3, first 2 shown]
	v_add_f64 v[126:127], v[146:147], v[140:141]
	v_mul_f64 v[140:141], v[203:204], s[22:23]
	s_mov_b32 s40, s50
	v_mov_b32_e32 v201, v158
	v_mul_f64 v[158:159], v[163:164], s[40:41]
	buffer_store_dword v232, off, s[60:63], 0 offset:4 ; 4-byte Folded Spill
	v_fma_f64 v[232:233], v[175:176], s[34:35], v[150:151]
	v_mul_f64 v[236:237], v[193:194], s[42:43]
	v_fma_f64 v[238:239], v[191:192], s[8:9], -v[156:157]
	v_fma_f64 v[152:153], v[179:180], s[8:9], v[140:141]
	v_fma_f64 v[140:141], v[179:180], s[8:9], -v[140:141]
	v_fma_f64 v[156:157], v[191:192], s[8:9], v[156:157]
	s_mov_b32 s55, 0x3fe9895b
	s_mov_b32 s54, s24
	v_mul_f64 v[154:155], v[34:35], s[54:55]
	v_fma_f64 v[242:243], v[177:178], s[30:31], v[158:159]
	v_fma_f64 v[244:245], v[189:190], s[34:35], -v[236:237]
	v_add_f64 v[152:153], v[78:79], v[152:153]
	v_add_f64 v[238:239], v[76:77], v[238:239]
	v_fma_f64 v[150:151], v[175:176], s[34:35], -v[150:151]
	v_add_f64 v[140:141], v[78:79], v[140:141]
	v_fma_f64 v[236:237], v[189:190], s[34:35], v[236:237]
	v_add_f64 v[156:157], v[76:77], v[156:157]
	s_mov_b32 s37, 0xbfd71e95
	s_mov_b32 s36, s38
	v_add_f64 v[152:153], v[232:233], v[152:153]
	v_mul_f64 v[232:233], v[184:185], s[40:41]
	v_mul_f64 v[146:147], v[32:33], s[36:37]
	v_fma_f64 v[240:241], v[173:174], s[10:11], v[154:155]
	v_add_f64 v[238:239], v[244:245], v[238:239]
	v_fma_f64 v[158:159], v[177:178], s[30:31], -v[158:159]
	v_add_f64 v[140:141], v[150:151], v[140:141]
	v_add_f64 v[156:157], v[236:237], v[156:157]
	;; [unrolled: 1-line block ×3, first 2 shown]
	v_mul_f64 v[242:243], v[195:196], s[54:55]
	v_fma_f64 v[246:247], v[199:200], s[30:31], -v[232:233]
	v_fma_f64 v[150:151], v[199:200], s[30:31], v[232:233]
	v_mul_f64 v[148:149], v[30:31], s[16:17]
	v_fma_f64 v[234:235], v[171:172], s[18:19], v[146:147]
	v_mul_f64 v[232:233], v[187:188], s[36:37]
	v_fma_f64 v[154:155], v[173:174], s[10:11], -v[154:155]
	v_add_f64 v[152:153], v[240:241], v[152:153]
	v_fma_f64 v[236:237], v[213:214], s[10:11], -v[242:243]
	v_add_f64 v[238:239], v[246:247], v[238:239]
	v_add_f64 v[140:141], v[158:159], v[140:141]
	v_fma_f64 v[158:159], v[213:214], s[10:11], v[242:243]
	v_add_f64 v[150:151], v[150:151], v[156:157]
	v_fma_f64 v[144:145], v[169:170], s[2:3], v[148:149]
	v_mul_f64 v[156:157], v[197:198], s[16:17]
	v_add_f64 v[152:153], v[234:235], v[152:153]
	v_fma_f64 v[234:235], v[211:212], s[18:19], -v[232:233]
	v_add_f64 v[236:237], v[236:237], v[238:239]
	v_fma_f64 v[146:147], v[171:172], s[18:19], -v[146:147]
	v_add_f64 v[140:141], v[154:155], v[140:141]
	v_fma_f64 v[154:155], v[211:212], s[18:19], v[232:233]
	v_add_f64 v[150:151], v[158:159], v[150:151]
	v_mov_b32_e32 v131, v1
	v_mov_b32_e32 v130, v0
	v_fma_f64 v[132:133], v[207:208], s[28:29], v[132:133]
	v_add_f64 v[128:129], v[138:139], v[128:129]
	v_add_f64 v[144:145], v[144:145], v[152:153]
	v_mul_f64 v[152:153], v[130:131], s[46:47]
	v_fma_f64 v[158:159], v[209:210], s[2:3], -v[156:157]
	v_add_f64 v[232:233], v[234:235], v[236:237]
	v_mul_f64 v[134:135], v[18:19], s[46:47]
	v_fma_f64 v[148:149], v[169:170], s[2:3], -v[148:149]
	v_add_f64 v[140:141], v[146:147], v[140:141]
	v_fma_f64 v[146:147], v[209:210], s[2:3], v[156:157]
	v_add_f64 v[150:151], v[154:155], v[150:151]
	v_fma_f64 v[136:137], v[205:206], s[30:31], v[136:137]
	v_add_f64 v[128:129], v[132:133], v[128:129]
	v_fma_f64 v[154:155], v[207:208], s[20:21], -v[152:153]
	v_add_f64 v[156:157], v[158:159], v[232:233]
	v_fma_f64 v[158:159], v[167:168], s[20:21], -v[134:135]
	v_add_f64 v[140:141], v[148:149], v[140:141]
	s_mov_b32 s53, 0x3feec746
	v_add_f64 v[146:147], v[146:147], v[150:151]
	v_mul_f64 v[150:151], v[203:204], s[24:25]
	v_add_f64 v[124:125], v[136:137], v[128:129]
	s_mov_b32 s52, s26
	v_add_f64 v[136:137], v[154:155], v[156:157]
	v_mul_f64 v[156:157], v[181:182], s[24:25]
	v_add_f64 v[140:141], v[158:159], v[140:141]
	v_mul_f64 v[158:159], v[165:166], s[52:53]
	v_mul_f64 v[242:243], v[193:194], s[52:53]
	v_fma_f64 v[234:235], v[179:180], s[10:11], v[150:151]
	v_mul_f64 v[238:239], v[163:164], s[36:37]
	v_fma_f64 v[150:151], v[179:180], s[10:11], -v[150:151]
	v_mul_f64 v[252:253], v[184:185], s[36:37]
	v_fma_f64 v[244:245], v[191:192], s[10:11], -v[156:157]
	v_mul_f64 v[248:249], v[34:35], s[22:23]
	v_fma_f64 v[246:247], v[175:176], s[28:29], v[158:159]
	v_fma_f64 v[230:231], v[189:190], s[28:29], -v[242:243]
	v_add_f64 v[234:235], v[78:79], v[234:235]
	v_fma_f64 v[250:251], v[177:178], s[18:19], v[238:239]
	v_fma_f64 v[158:159], v[175:176], s[28:29], -v[158:159]
	v_add_f64 v[150:151], v[78:79], v[150:151]
	v_add_f64 v[244:245], v[76:77], v[244:245]
	v_mul_f64 v[138:139], v[28:29], s[26:27]
	v_fma_f64 v[142:143], v[167:168], s[20:21], v[134:135]
	buffer_store_dword v124, off, s[60:63], 0 offset:92 ; 4-byte Folded Spill
	s_nop 0
	buffer_store_dword v125, off, s[60:63], 0 offset:96 ; 4-byte Folded Spill
	buffer_store_dword v126, off, s[60:63], 0 offset:100 ; 4-byte Folded Spill
	;; [unrolled: 1-line block ×3, first 2 shown]
	v_add_f64 v[234:235], v[246:247], v[234:235]
	buffer_store_dword v255, off, s[60:63], 0 offset:108 ; 4-byte Folded Spill
	buffer_store_dword v2, off, s[60:63], 0 offset:164 ; 4-byte Folded Spill
	s_nop 0
	buffer_store_dword v3, off, s[60:63], 0 offset:168 ; 4-byte Folded Spill
	buffer_store_dword v4, off, s[60:63], 0 offset:172 ; 4-byte Folded Spill
	;; [unrolled: 1-line block ×3, first 2 shown]
	v_mul_f64 v[254:255], v[195:196], s[22:23]
	v_fma_f64 v[156:157], v[191:192], s[10:11], v[156:157]
	v_fma_f64 v[0:1], v[199:200], s[18:19], -v[252:253]
	v_add_f64 v[2:3], v[230:231], v[244:245]
	v_mul_f64 v[154:155], v[32:33], s[50:51]
	v_fma_f64 v[246:247], v[173:174], s[8:9], v[248:249]
	v_fma_f64 v[230:231], v[177:178], s[18:19], -v[238:239]
	v_add_f64 v[150:151], v[158:159], v[150:151]
	v_add_f64 v[158:159], v[250:251], v[234:235]
	v_fma_f64 v[132:133], v[161:162], s[28:29], v[138:139]
	v_add_f64 v[142:143], v[142:143], v[144:145]
	v_mul_f64 v[144:145], v[201:202], s[26:27]
	s_mov_b32 s45, 0xbfe58eea
	s_mov_b32 s44, s46
	v_mul_f64 v[234:235], v[187:188], s[50:51]
	v_fma_f64 v[238:239], v[189:190], s[28:29], v[242:243]
	v_add_f64 v[156:157], v[76:77], v[156:157]
	v_fma_f64 v[242:243], v[213:214], s[8:9], -v[254:255]
	v_add_f64 v[0:1], v[0:1], v[2:3]
	v_fma_f64 v[148:149], v[207:208], s[20:21], v[152:153]
	v_mul_f64 v[152:153], v[30:31], s[44:45]
	v_fma_f64 v[240:241], v[171:172], s[30:31], v[154:155]
	v_fma_f64 v[2:3], v[173:174], s[8:9], -v[248:249]
	v_add_f64 v[150:151], v[230:231], v[150:151]
	v_add_f64 v[158:159], v[246:247], v[158:159]
	v_add_f64 v[126:127], v[132:133], v[142:143]
	v_fma_f64 v[132:133], v[205:206], s[28:29], -v[144:145]
	v_mul_f64 v[230:231], v[197:198], s[44:45]
	v_add_f64 v[156:157], v[238:239], v[156:157]
	v_fma_f64 v[238:239], v[211:212], s[30:31], -v[234:235]
	v_add_f64 v[0:1], v[242:243], v[0:1]
	v_add_f64 v[146:147], v[148:149], v[146:147]
	v_mul_f64 v[148:149], v[18:19], s[16:17]
	v_fma_f64 v[236:237], v[169:170], s[20:21], v[152:153]
	v_fma_f64 v[244:245], v[199:200], s[18:19], v[252:253]
	v_fma_f64 v[154:155], v[171:172], s[30:31], -v[154:155]
	v_add_f64 v[2:3], v[2:3], v[150:151]
	v_add_f64 v[150:151], v[240:241], v[158:159]
	v_mov_b32_e32 v129, v29
	v_add_f64 v[124:125], v[132:133], v[136:137]
	v_fma_f64 v[138:139], v[161:162], s[28:29], -v[138:139]
	v_fma_f64 v[144:145], v[205:206], s[28:29], v[144:145]
	v_mov_b32_e32 v128, v28
	v_mul_f64 v[158:159], v[130:131], s[16:17]
	v_fma_f64 v[242:243], v[209:210], s[20:21], -v[230:231]
	v_add_f64 v[0:1], v[238:239], v[0:1]
	v_mul_f64 v[142:143], v[128:129], s[42:43]
	v_fma_f64 v[232:233], v[167:168], s[2:3], v[148:149]
	v_fma_f64 v[240:241], v[213:214], s[8:9], v[254:255]
	v_add_f64 v[156:157], v[244:245], v[156:157]
	v_fma_f64 v[152:153], v[169:170], s[20:21], -v[152:153]
	v_add_f64 v[2:3], v[154:155], v[2:3]
	v_add_f64 v[150:151], v[236:237], v[150:151]
	buffer_store_dword v124, off, s[60:63], 0 offset:116 ; 4-byte Folded Spill
	s_nop 0
	buffer_store_dword v125, off, s[60:63], 0 offset:120 ; 4-byte Folded Spill
	buffer_store_dword v126, off, s[60:63], 0 offset:124 ; 4-byte Folded Spill
	;; [unrolled: 1-line block ×3, first 2 shown]
	v_mul_f64 v[154:155], v[201:202], s[42:43]
	v_fma_f64 v[236:237], v[207:208], s[2:3], -v[158:159]
	v_add_f64 v[0:1], v[242:243], v[0:1]
	v_add_f64 v[126:127], v[138:139], v[140:141]
	;; [unrolled: 1-line block ×3, first 2 shown]
	v_fma_f64 v[234:235], v[211:212], s[30:31], v[234:235]
	v_add_f64 v[156:157], v[240:241], v[156:157]
	v_add_f64 v[2:3], v[152:153], v[2:3]
	v_fma_f64 v[152:153], v[161:162], s[34:35], v[142:143]
	v_add_f64 v[150:151], v[232:233], v[150:151]
	v_fma_f64 v[232:233], v[205:206], s[34:35], -v[154:155]
	v_add_f64 v[0:1], v[236:237], v[0:1]
	buffer_store_dword v124, off, s[60:63], 0 offset:148 ; 4-byte Folded Spill
	s_nop 0
	buffer_store_dword v125, off, s[60:63], 0 offset:152 ; 4-byte Folded Spill
	buffer_store_dword v126, off, s[60:63], 0 offset:156 ; 4-byte Folded Spill
	;; [unrolled: 1-line block ×3, first 2 shown]
	v_fma_f64 v[148:149], v[167:168], s[2:3], -v[148:149]
	v_fma_f64 v[230:231], v[209:210], s[20:21], v[230:231]
	v_add_f64 v[156:157], v[234:235], v[156:157]
	v_mul_f64 v[144:145], v[203:204], s[26:27]
	v_add_f64 v[126:127], v[152:153], v[150:151]
	v_mul_f64 v[152:153], v[181:182], s[26:27]
	v_mov_b32_e32 v140, v193
	v_add_f64 v[124:125], v[232:233], v[0:1]
	s_mov_b32 s57, 0x3fe0d888
	s_mov_b32 s56, s22
	v_mov_b32_e32 v141, v194
	v_fma_f64 v[234:235], v[161:162], s[34:35], -v[142:143]
	v_add_f64 v[2:3], v[148:149], v[2:3]
	v_fma_f64 v[148:149], v[207:208], s[2:3], v[158:159]
	v_add_f64 v[156:157], v[230:231], v[156:157]
	v_fma_f64 v[0:1], v[205:206], s[34:35], v[154:155]
	v_mul_f64 v[154:155], v[165:166], s[56:57]
	v_fma_f64 v[158:159], v[179:180], s[28:29], v[144:145]
	v_mul_f64 v[230:231], v[140:141], s[56:57]
	v_fma_f64 v[232:233], v[191:192], s[28:29], -v[152:153]
	v_mov_b32_e32 v138, v184
	buffer_store_dword v124, off, s[60:63], 0 offset:132 ; 4-byte Folded Spill
	s_nop 0
	buffer_store_dword v125, off, s[60:63], 0 offset:136 ; 4-byte Folded Spill
	buffer_store_dword v126, off, s[60:63], 0 offset:140 ; 4-byte Folded Spill
	;; [unrolled: 1-line block ×3, first 2 shown]
	v_mov_b32_e32 v139, v185
	v_add_f64 v[126:127], v[234:235], v[2:3]
	v_mul_f64 v[234:235], v[163:164], s[46:47]
	v_fma_f64 v[236:237], v[175:176], s[8:9], v[154:155]
	v_fma_f64 v[144:145], v[179:180], s[28:29], -v[144:145]
	v_add_f64 v[158:159], v[78:79], v[158:159]
	v_mul_f64 v[238:239], v[138:139], s[46:47]
	v_fma_f64 v[240:241], v[189:190], s[8:9], -v[230:231]
	v_add_f64 v[232:233], v[76:77], v[232:233]
	v_mov_b32_e32 v133, v35
	v_mov_b32_e32 v136, v195
	s_mov_b32 s49, 0xbfeca52d
	s_mov_b32 s48, s42
	v_mov_b32_e32 v132, v34
	v_mov_b32_e32 v137, v196
	v_mul_f64 v[242:243], v[132:133], s[48:49]
	v_fma_f64 v[244:245], v[177:178], s[20:21], v[234:235]
	v_fma_f64 v[154:155], v[175:176], s[8:9], -v[154:155]
	v_add_f64 v[144:145], v[78:79], v[144:145]
	v_add_f64 v[158:159], v[236:237], v[158:159]
	v_mul_f64 v[236:237], v[136:137], s[48:49]
	v_fma_f64 v[246:247], v[199:200], s[20:21], -v[238:239]
	v_add_f64 v[232:233], v[240:241], v[232:233]
	v_mul_f64 v[240:241], v[32:33], s[16:17]
	v_fma_f64 v[248:249], v[173:174], s[34:35], v[242:243]
	v_fma_f64 v[234:235], v[177:178], s[20:21], -v[234:235]
	v_add_f64 v[144:145], v[154:155], v[144:145]
	v_add_f64 v[154:155], v[244:245], v[158:159]
	v_mul_f64 v[158:159], v[187:188], s[16:17]
	v_fma_f64 v[244:245], v[213:214], s[34:35], -v[236:237]
	v_add_f64 v[232:233], v[246:247], v[232:233]
	;; [unrolled: 8-line block ×3, first 2 shown]
	v_mov_b32_e32 v28, v130
	v_mov_b32_e32 v29, v131
	v_mul_f64 v[2:3], v[18:19], s[36:37]
	v_fma_f64 v[244:245], v[169:170], s[30:31], v[246:247]
	v_fma_f64 v[240:241], v[171:172], s[2:3], -v[240:241]
	v_fma_f64 v[152:153], v[191:192], s[28:29], v[152:153]
	v_add_f64 v[144:145], v[242:243], v[144:145]
	v_add_f64 v[154:155], v[250:251], v[154:155]
	v_mul_f64 v[242:243], v[28:29], s[36:37]
	v_fma_f64 v[250:251], v[209:210], s[30:31], -v[234:235]
	v_add_f64 v[232:233], v[248:249], v[232:233]
	v_add_f64 v[148:149], v[148:149], v[156:157]
	v_fma_f64 v[156:157], v[167:168], s[18:19], v[2:3]
	v_fma_f64 v[230:231], v[189:190], s[8:9], v[230:231]
	v_add_f64 v[152:153], v[76:77], v[152:153]
	v_add_f64 v[144:145], v[240:241], v[144:145]
	;; [unrolled: 1-line block ×3, first 2 shown]
	v_mul_f64 v[240:241], v[201:202], s[24:25]
	v_fma_f64 v[244:245], v[207:208], s[18:19], -v[242:243]
	v_add_f64 v[232:233], v[250:251], v[232:233]
	v_mul_f64 v[150:151], v[128:129], s[24:25]
	v_fma_f64 v[246:247], v[169:170], s[30:31], -v[246:247]
	v_fma_f64 v[238:239], v[199:200], s[20:21], v[238:239]
	v_add_f64 v[152:153], v[230:231], v[152:153]
	v_add_f64 v[154:155], v[156:157], v[154:155]
	v_fma_f64 v[156:157], v[205:206], s[10:11], -v[240:241]
	v_fma_f64 v[2:3], v[167:168], s[18:19], -v[2:3]
	v_add_f64 v[232:233], v[244:245], v[232:233]
	v_fma_f64 v[230:231], v[161:162], s[10:11], v[150:151]
	v_add_f64 v[144:145], v[246:247], v[144:145]
	v_fma_f64 v[236:237], v[213:214], s[34:35], v[236:237]
	v_add_f64 v[152:153], v[238:239], v[152:153]
	v_add_f64 v[124:125], v[0:1], v[148:149]
	v_mul_f64 v[0:1], v[203:204], s[40:41]
	v_fma_f64 v[244:245], v[161:162], s[10:11], -v[150:151]
	v_add_f64 v[148:149], v[156:157], v[232:233]
	v_fma_f64 v[156:157], v[211:212], s[2:3], v[158:159]
	v_mul_f64 v[158:159], v[181:182], s[40:41]
	v_add_f64 v[2:3], v[2:3], v[144:145]
	v_add_f64 v[150:151], v[230:231], v[154:155]
	;; [unrolled: 1-line block ×3, first 2 shown]
	v_mul_f64 v[230:231], v[165:166], s[16:17]
	v_fma_f64 v[232:233], v[179:180], s[30:31], v[0:1]
	v_mul_f64 v[236:237], v[140:141], s[16:17]
	v_fma_f64 v[234:235], v[209:210], s[30:31], v[234:235]
	v_fma_f64 v[238:239], v[191:192], s[30:31], -v[158:159]
	v_add_f64 v[154:155], v[244:245], v[2:3]
	v_fma_f64 v[2:3], v[205:206], s[10:11], v[240:241]
	v_add_f64 v[152:153], v[156:157], v[152:153]
	v_fma_f64 v[156:157], v[207:208], s[18:19], v[242:243]
	v_mul_f64 v[240:241], v[163:164], s[52:53]
	v_fma_f64 v[242:243], v[175:176], s[2:3], v[230:231]
	v_add_f64 v[232:233], v[78:79], v[232:233]
	v_mul_f64 v[244:245], v[138:139], s[52:53]
	v_fma_f64 v[246:247], v[189:190], s[2:3], -v[236:237]
	v_add_f64 v[238:239], v[76:77], v[238:239]
	v_fma_f64 v[0:1], v[179:180], s[30:31], -v[0:1]
	v_add_f64 v[152:153], v[234:235], v[152:153]
	v_mul_f64 v[234:235], v[132:133], s[38:39]
	v_fma_f64 v[248:249], v[177:178], s[28:29], v[240:241]
	v_add_f64 v[232:233], v[242:243], v[232:233]
	v_mul_f64 v[242:243], v[136:137], s[38:39]
	v_fma_f64 v[250:251], v[199:200], s[28:29], -v[244:245]
	v_add_f64 v[238:239], v[246:247], v[238:239]
	v_fma_f64 v[230:231], v[175:176], s[2:3], -v[230:231]
	v_add_f64 v[0:1], v[78:79], v[0:1]
	;; [unrolled: 8-line block ×3, first 2 shown]
	buffer_store_dword v124, off, s[60:63], 0 offset:180 ; 4-byte Folded Spill
	s_nop 0
	buffer_store_dword v125, off, s[60:63], 0 offset:184 ; 4-byte Folded Spill
	buffer_store_dword v126, off, s[60:63], 0 offset:188 ; 4-byte Folded Spill
	;; [unrolled: 1-line block ×3, first 2 shown]
	v_mov_b32_e32 v127, v31
	v_mov_b32_e32 v126, v30
	;; [unrolled: 1-line block ×3, first 2 shown]
	v_mul_f64 v[230:231], v[126:127], s[22:23]
	v_fma_f64 v[250:251], v[171:172], s[34:35], v[246:247]
	v_add_f64 v[232:233], v[252:253], v[232:233]
	v_mul_f64 v[252:253], v[197:198], s[22:23]
	v_fma_f64 v[4:5], v[211:212], s[34:35], -v[248:249]
	v_mov_b32_e32 v218, v8
	v_mov_b32_e32 v217, v7
	;; [unrolled: 1-line block ×3, first 2 shown]
	v_add_f64 v[6:7], v[254:255], v[238:239]
	v_fma_f64 v[234:235], v[173:174], s[18:19], -v[234:235]
	v_add_f64 v[0:1], v[240:241], v[0:1]
	v_mul_f64 v[238:239], v[18:19], s[54:55]
	v_fma_f64 v[240:241], v[169:170], s[8:9], v[230:231]
	v_add_f64 v[232:233], v[250:251], v[232:233]
	v_mul_f64 v[250:251], v[28:29], s[54:55]
	v_fma_f64 v[254:255], v[209:210], s[8:9], -v[252:253]
	v_add_f64 v[4:5], v[4:5], v[6:7]
	v_fma_f64 v[6:7], v[171:172], s[34:35], -v[246:247]
	v_add_f64 v[0:1], v[234:235], v[0:1]
	v_mov_b32_e32 v131, v129
	v_mov_b32_e32 v142, v201
	;; [unrolled: 1-line block ×5, first 2 shown]
	v_mul_f64 v[234:235], v[130:131], s[46:47]
	v_fma_f64 v[246:247], v[167:168], s[10:11], v[238:239]
	v_add_f64 v[232:233], v[240:241], v[232:233]
	v_mul_f64 v[240:241], v[142:143], s[46:47]
	v_fma_f64 v[8:9], v[207:208], s[10:11], -v[250:251]
	v_add_f64 v[4:5], v[254:255], v[4:5]
	v_mov_b32_e32 v222, v12
	v_mov_b32_e32 v221, v11
	;; [unrolled: 1-line block ×3, first 2 shown]
	v_fma_f64 v[10:11], v[169:170], s[8:9], -v[230:231]
	v_add_f64 v[0:1], v[6:7], v[0:1]
	v_add_f64 v[6:7], v[156:157], v[152:153]
	v_fma_f64 v[158:159], v[191:192], s[30:31], v[158:159]
	v_fma_f64 v[156:157], v[161:162], s[20:21], v[234:235]
	v_add_f64 v[230:231], v[246:247], v[232:233]
	v_fma_f64 v[232:233], v[205:206], s[20:21], -v[240:241]
	v_add_f64 v[4:5], v[8:9], v[4:5]
	v_fma_f64 v[8:9], v[167:168], s[10:11], -v[238:239]
	v_add_f64 v[0:1], v[10:11], v[0:1]
	v_add_f64 v[152:153], v[2:3], v[6:7]
	v_fma_f64 v[2:3], v[189:190], s[2:3], v[236:237]
	v_mul_f64 v[6:7], v[203:204], s[48:49]
	v_add_f64 v[10:11], v[76:77], v[158:159]
	v_mov_b32_e32 v144, v181
	v_mov_b32_e32 v145, v182
	v_add_f64 v[158:159], v[156:157], v[230:231]
	v_add_f64 v[156:157], v[232:233], v[4:5]
	;; [unrolled: 1-line block ×3, first 2 shown]
	v_fma_f64 v[8:9], v[199:200], s[28:29], v[244:245]
	v_mul_f64 v[230:231], v[165:166], s[24:25]
	v_fma_f64 v[232:233], v[179:180], s[34:35], v[6:7]
	v_add_f64 v[2:3], v[2:3], v[10:11]
	v_mul_f64 v[236:237], v[144:145], s[48:49]
	v_mov_b32_e32 v134, v163
	v_mov_b32_e32 v135, v164
	s_mov_b32 s51, 0x3fc7851a
	s_mov_b32 s50, s16
	v_fma_f64 v[4:5], v[161:162], s[20:21], -v[234:235]
	v_fma_f64 v[10:11], v[213:214], s[18:19], v[242:243]
	v_mul_f64 v[234:235], v[134:135], s[50:51]
	v_fma_f64 v[238:239], v[175:176], s[10:11], v[230:231]
	v_add_f64 v[232:233], v[78:79], v[232:233]
	v_add_f64 v[2:3], v[8:9], v[2:3]
	v_mul_f64 v[242:243], v[140:141], s[24:25]
	v_fma_f64 v[244:245], v[191:192], s[34:35], -v[236:237]
	v_fma_f64 v[8:9], v[205:206], s[20:21], v[240:241]
	v_fma_f64 v[240:241], v[211:212], s[34:35], v[248:249]
	v_mul_f64 v[246:247], v[132:133], s[52:53]
	v_fma_f64 v[248:249], v[177:178], s[2:3], v[234:235]
	v_add_f64 v[232:233], v[238:239], v[232:233]
	v_add_f64 v[2:3], v[10:11], v[2:3]
	v_fma_f64 v[10:11], v[209:210], s[8:9], v[252:253]
	v_mul_f64 v[252:253], v[138:139], s[50:51]
	v_fma_f64 v[238:239], v[189:190], s[10:11], -v[242:243]
	v_add_f64 v[244:245], v[76:77], v[244:245]
	v_mov_b32_e32 v129, v33
	v_mov_b32_e32 v128, v32
	;; [unrolled: 1-line block ×3, first 2 shown]
	v_mul_f64 v[254:255], v[128:129], s[46:47]
	v_fma_f64 v[12:13], v[173:174], s[28:29], v[246:247]
	v_mov_b32_e32 v34, v16
	v_mov_b32_e32 v33, v15
	;; [unrolled: 1-line block ×3, first 2 shown]
	v_add_f64 v[14:15], v[248:249], v[232:233]
	v_add_f64 v[2:3], v[240:241], v[2:3]
	v_mul_f64 v[240:241], v[136:137], s[52:53]
	v_fma_f64 v[248:249], v[199:200], s[2:3], -v[252:253]
	v_add_f64 v[238:239], v[238:239], v[244:245]
	v_fma_f64 v[232:233], v[207:208], s[10:11], v[250:251]
	v_mul_f64 v[244:245], v[126:127], s[36:37]
	v_fma_f64 v[250:251], v[171:172], s[20:21], v[254:255]
	v_add_f64 v[12:13], v[12:13], v[14:15]
	v_add_f64 v[2:3], v[10:11], v[2:3]
	v_mul_f64 v[10:11], v[187:188], s[46:47]
	v_fma_f64 v[6:7], v[179:180], s[34:35], -v[6:7]
	v_fma_f64 v[14:15], v[213:214], s[28:29], -v[240:241]
	v_add_f64 v[238:239], v[248:249], v[238:239]
	v_mov_b32_e32 v125, v19
	v_mov_b32_e32 v124, v18
	v_mul_f64 v[248:249], v[124:125], s[40:41]
	v_fma_f64 v[16:17], v[169:170], s[18:19], v[244:245]
	v_add_f64 v[12:13], v[250:251], v[12:13]
	v_mul_f64 v[18:19], v[197:198], s[36:37]
	v_fma_f64 v[230:231], v[175:176], s[10:11], -v[230:231]
	v_add_f64 v[6:7], v[78:79], v[6:7]
	v_fma_f64 v[250:251], v[211:212], s[20:21], -v[10:11]
	v_add_f64 v[14:15], v[14:15], v[238:239]
	v_mov_b32_e32 v147, v29
	v_mov_b32_e32 v146, v28
	;; [unrolled: 1-line block ×3, first 2 shown]
	v_mul_f64 v[226:227], v[130:131], s[22:23]
	v_fma_f64 v[238:239], v[167:168], s[30:31], v[248:249]
	v_add_f64 v[12:13], v[16:17], v[12:13]
	v_mul_f64 v[16:17], v[146:147], s[40:41]
	v_fma_f64 v[234:235], v[177:178], s[2:3], -v[234:235]
	v_add_f64 v[6:7], v[230:231], v[6:7]
	v_fma_f64 v[230:231], v[209:210], s[18:19], -v[18:19]
	v_add_f64 v[14:15], v[250:251], v[14:15]
	v_add_f64 v[2:3], v[232:233], v[2:3]
	v_fma_f64 v[250:251], v[161:162], s[8:9], v[226:227]
	v_add_f64 v[12:13], v[238:239], v[12:13]
	v_fma_f64 v[246:247], v[173:174], s[28:29], -v[246:247]
	v_fma_f64 v[163:164], v[207:208], s[30:31], -v[16:17]
	v_add_f64 v[6:7], v[234:235], v[6:7]
	v_add_f64 v[234:235], v[4:5], v[0:1]
	;; [unrolled: 1-line block ×4, first 2 shown]
	v_mul_f64 v[2:3], v[203:204], s[44:45]
	v_add_f64 v[238:239], v[250:251], v[12:13]
	v_fma_f64 v[0:1], v[171:172], s[20:21], -v[254:255]
	v_fma_f64 v[12:13], v[161:162], s[8:9], -v[226:227]
	v_add_f64 v[4:5], v[246:247], v[6:7]
	v_mul_f64 v[226:227], v[165:166], s[40:41]
	v_add_f64 v[8:9], v[163:164], v[14:15]
	v_fma_f64 v[14:15], v[191:192], s[34:35], v[236:237]
	v_fma_f64 v[163:164], v[169:170], s[18:19], -v[244:245]
	v_fma_f64 v[230:231], v[179:180], s[20:21], v[2:3]
	v_mul_f64 v[244:245], v[144:145], s[44:45]
	v_fma_f64 v[236:237], v[189:190], s[10:11], v[242:243]
	v_add_f64 v[0:1], v[0:1], v[4:5]
	v_fma_f64 v[4:5], v[167:168], s[30:31], -v[248:249]
	v_mul_f64 v[248:249], v[134:135], s[24:25]
	v_add_f64 v[14:15], v[76:77], v[14:15]
	v_fma_f64 v[242:243], v[175:176], s[30:31], v[226:227]
	v_add_f64 v[230:231], v[78:79], v[230:231]
	v_mul_f64 v[250:251], v[140:141], s[40:41]
	v_fma_f64 v[246:247], v[191:192], s[20:21], -v[244:245]
	v_add_f64 v[0:1], v[163:164], v[0:1]
	v_fma_f64 v[163:164], v[199:200], s[2:3], v[252:253]
	v_mul_f64 v[252:253], v[132:133], s[16:17]
	v_add_f64 v[14:15], v[236:237], v[14:15]
	v_fma_f64 v[236:237], v[177:178], s[10:11], v[248:249]
	v_add_f64 v[230:231], v[242:243], v[230:231]
	v_mul_f64 v[254:255], v[138:139], s[24:25]
	v_fma_f64 v[242:243], v[189:190], s[30:31], -v[250:251]
	v_add_f64 v[246:247], v[76:77], v[246:247]
	v_fma_f64 v[240:241], v[213:214], s[28:29], v[240:241]
	v_fma_f64 v[181:182], v[173:174], s[2:3], v[252:253]
	v_add_f64 v[14:15], v[163:164], v[14:15]
	v_mul_f64 v[163:164], v[128:129], s[56:57]
	v_add_f64 v[230:231], v[236:237], v[230:231]
	v_mul_f64 v[30:31], v[136:137], s[16:17]
	v_fma_f64 v[236:237], v[199:200], s[10:11], -v[254:255]
	v_add_f64 v[242:243], v[242:243], v[246:247]
	v_fma_f64 v[10:11], v[211:212], s[20:21], v[10:11]
	v_mov_b32_e32 v215, v183
	v_add_f64 v[14:15], v[240:241], v[14:15]
	v_mul_f64 v[183:184], v[126:127], s[52:53]
	v_fma_f64 v[240:241], v[171:172], s[8:9], v[163:164]
	v_add_f64 v[181:182], v[181:182], v[230:231]
	v_mul_f64 v[230:231], v[187:188], s[56:57]
	v_fma_f64 v[246:247], v[213:214], s[2:3], -v[30:31]
	v_add_f64 v[236:237], v[236:237], v[242:243]
	v_fma_f64 v[18:19], v[209:210], s[18:19], v[18:19]
	v_add_f64 v[10:11], v[10:11], v[14:15]
	v_mul_f64 v[14:15], v[124:125], s[42:43]
	v_fma_f64 v[242:243], v[169:170], s[28:29], v[183:184]
	v_add_f64 v[181:182], v[240:241], v[181:182]
	v_mul_f64 v[185:186], v[197:198], s[52:53]
	v_fma_f64 v[240:241], v[211:212], s[8:9], -v[230:231]
	v_add_f64 v[236:237], v[246:247], v[236:237]
	v_fma_f64 v[16:17], v[207:208], s[30:31], v[16:17]
	v_add_f64 v[10:11], v[18:19], v[10:11]
	v_mul_f64 v[18:19], v[130:131], s[38:39]
	v_fma_f64 v[246:247], v[167:168], s[34:35], v[14:15]
	v_add_f64 v[181:182], v[242:243], v[181:182]
	v_add_f64 v[0:1], v[4:5], v[0:1]
	v_fma_f64 v[242:243], v[209:210], s[28:29], -v[185:186]
	v_add_f64 v[236:237], v[240:241], v[236:237]
	v_fma_f64 v[2:3], v[179:180], s[20:21], -v[2:3]
	v_add_f64 v[10:11], v[16:17], v[10:11]
	v_fma_f64 v[16:17], v[161:162], s[18:19], v[18:19]
	v_mul_f64 v[28:29], v[142:143], s[22:23]
	v_add_f64 v[181:182], v[246:247], v[181:182]
	v_mul_f64 v[4:5], v[146:147], s[42:43]
	v_add_f64 v[86:87], v[78:79], v[86:87]
	v_add_f64 v[201:202], v[242:243], v[236:237]
	;; [unrolled: 1-line block ×3, first 2 shown]
	v_fma_f64 v[0:1], v[175:176], s[30:31], -v[226:227]
	v_add_f64 v[2:3], v[78:79], v[2:3]
	v_fma_f64 v[6:7], v[205:206], s[8:9], -v[28:29]
	v_add_f64 v[246:247], v[16:17], v[181:182]
	v_fma_f64 v[16:17], v[177:178], s[10:11], -v[248:249]
	v_fma_f64 v[28:29], v[205:206], s[8:9], v[28:29]
	v_fma_f64 v[181:182], v[173:174], s[2:3], -v[252:253]
	v_add_f64 v[84:85], v[76:77], v[84:85]
	v_fma_f64 v[195:196], v[207:208], s[34:35], -v[4:5]
	v_add_f64 v[0:1], v[0:1], v[2:3]
	v_add_f64 v[236:237], v[6:7], v[8:9]
	v_fma_f64 v[6:7], v[161:162], s[18:19], -v[18:19]
	v_fma_f64 v[8:9], v[191:192], s[20:21], v[244:245]
	v_add_f64 v[240:241], v[28:29], v[10:11]
	v_mul_f64 v[18:19], v[203:204], s[36:37]
	v_fma_f64 v[28:29], v[171:172], s[8:9], -v[163:164]
	v_add_f64 v[86:87], v[90:91], v[86:87]
	v_add_f64 v[0:1], v[16:17], v[0:1]
	;; [unrolled: 1-line block ×4, first 2 shown]
	v_fma_f64 v[2:3], v[169:170], s[28:29], -v[183:184]
	v_fma_f64 v[163:164], v[189:190], s[30:31], v[250:251]
	v_add_f64 v[8:9], v[76:77], v[8:9]
	v_mul_f64 v[183:184], v[165:166], s[44:45]
	v_fma_f64 v[195:196], v[179:180], s[18:19], v[18:19]
	v_add_f64 v[0:1], v[181:182], v[0:1]
	v_add_f64 v[82:83], v[82:83], v[86:87]
	;; [unrolled: 1-line block ×3, first 2 shown]
	v_fma_f64 v[14:15], v[167:168], s[34:35], -v[14:15]
	v_fma_f64 v[18:19], v[179:180], s[18:19], -v[18:19]
	v_add_f64 v[8:9], v[163:164], v[8:9]
	v_mul_f64 v[163:164], v[134:135], s[48:49]
	v_fma_f64 v[201:202], v[175:176], s[20:21], v[183:184]
	v_add_f64 v[0:1], v[28:29], v[0:1]
	v_add_f64 v[195:196], v[78:79], v[195:196]
	;; [unrolled: 1-line block ×4, first 2 shown]
	v_fma_f64 v[16:17], v[199:200], s[10:11], v[254:255]
	v_mul_f64 v[98:99], v[140:141], s[44:45]
	v_fma_f64 v[88:89], v[177:178], s[34:35], v[163:164]
	v_add_f64 v[18:19], v[78:79], v[18:19]
	v_add_f64 v[0:1], v[2:3], v[0:1]
	;; [unrolled: 1-line block ×3, first 2 shown]
	v_fma_f64 v[30:31], v[213:214], s[2:3], v[30:31]
	v_fma_f64 v[28:29], v[211:212], s[8:9], v[230:231]
	v_add_f64 v[8:9], v[16:17], v[8:9]
	v_mul_f64 v[16:17], v[132:133], s[40:41]
	v_fma_f64 v[78:79], v[189:190], s[20:21], v[98:99]
	v_fma_f64 v[98:99], v[189:190], s[20:21], -v[98:99]
	v_add_f64 v[0:1], v[14:15], v[0:1]
	v_add_f64 v[14:15], v[102:103], v[82:83]
	;; [unrolled: 1-line block ×4, first 2 shown]
	v_mul_f64 v[90:91], v[144:145], s[36:37]
	v_mul_f64 v[102:103], v[138:139], s[48:49]
	v_add_f64 v[8:9], v[30:31], v[8:9]
	v_mul_f64 v[30:31], v[128:129], s[26:27]
	v_add_f64 v[80:81], v[6:7], v[0:1]
	v_add_f64 v[6:7], v[94:95], v[14:15]
	;; [unrolled: 1-line block ×3, first 2 shown]
	v_fma_f64 v[84:85], v[173:174], s[30:31], v[16:17]
	v_fma_f64 v[100:101], v[191:192], s[18:19], v[90:91]
	v_fma_f64 v[90:91], v[191:192], s[18:19], -v[90:91]
	v_mul_f64 v[96:97], v[136:137], s[40:41]
	v_fma_f64 v[16:17], v[173:174], s[30:31], -v[16:17]
	v_fma_f64 v[2:3], v[209:210], s[28:29], v[185:186]
	v_add_f64 v[6:7], v[106:107], v[6:7]
	v_add_f64 v[14:15], v[104:105], v[14:15]
	v_fma_f64 v[104:105], v[175:176], s[20:21], -v[183:184]
	v_add_f64 v[100:101], v[76:77], v[100:101]
	v_add_f64 v[76:77], v[76:77], v[90:91]
	v_fma_f64 v[90:91], v[177:178], s[34:35], -v[163:164]
	v_add_f64 v[8:9], v[28:29], v[8:9]
	v_mul_f64 v[28:29], v[126:127], s[24:25]
	v_add_f64 v[6:7], v[110:111], v[6:7]
	v_add_f64 v[14:15], v[108:109], v[14:15]
	v_add_f64 v[18:19], v[104:105], v[18:19]
	v_fma_f64 v[104:105], v[199:200], s[34:35], v[102:103]
	v_add_f64 v[78:79], v[78:79], v[100:101]
	v_fma_f64 v[100:101], v[199:200], s[34:35], -v[102:103]
	v_add_f64 v[76:77], v[98:99], v[76:77]
	v_fma_f64 v[88:89], v[171:172], s[28:29], v[30:31]
	v_mul_f64 v[94:95], v[187:188], s[26:27]
	v_add_f64 v[6:7], v[114:115], v[6:7]
	v_add_f64 v[18:19], v[90:91], v[18:19]
	;; [unrolled: 1-line block ×3, first 2 shown]
	v_fma_f64 v[90:91], v[213:214], s[30:31], v[96:97]
	v_add_f64 v[78:79], v[104:105], v[78:79]
	v_fma_f64 v[96:97], v[213:214], s[30:31], -v[96:97]
	v_add_f64 v[76:77], v[100:101], v[76:77]
	v_fma_f64 v[30:31], v[171:172], s[28:29], -v[30:31]
	v_add_f64 v[84:85], v[84:85], v[86:87]
	v_add_f64 v[16:17], v[16:17], v[18:19]
	v_fma_f64 v[4:5], v[207:208], s[34:35], v[4:5]
	v_add_f64 v[2:3], v[2:3], v[8:9]
	v_mul_f64 v[8:9], v[124:125], s[22:23]
	v_fma_f64 v[86:87], v[169:170], s[10:11], v[28:29]
	v_mul_f64 v[92:93], v[197:198], s[24:25]
	v_add_f64 v[6:7], v[118:119], v[6:7]
	v_add_f64 v[14:15], v[116:117], v[14:15]
	v_fma_f64 v[18:19], v[211:212], s[28:29], v[94:95]
	v_add_f64 v[78:79], v[90:91], v[78:79]
	v_fma_f64 v[90:91], v[211:212], s[28:29], -v[94:95]
	v_add_f64 v[76:77], v[96:97], v[76:77]
	v_fma_f64 v[28:29], v[169:170], s[10:11], -v[28:29]
	v_add_f64 v[16:17], v[30:31], v[16:17]
	v_add_f64 v[84:85], v[88:89], v[84:85]
	;; [unrolled: 1-line block ×3, first 2 shown]
	v_mul_f64 v[2:3], v[130:131], s[16:17]
	v_fma_f64 v[4:5], v[167:168], s[8:9], v[8:9]
	v_mul_f64 v[88:89], v[146:147], s[22:23]
	v_add_f64 v[6:7], v[122:123], v[6:7]
	v_add_f64 v[14:15], v[120:121], v[14:15]
	v_fma_f64 v[30:31], v[209:210], s[10:11], v[92:93]
	v_add_f64 v[18:19], v[18:19], v[78:79]
	v_fma_f64 v[78:79], v[209:210], s[10:11], -v[92:93]
	v_add_f64 v[76:77], v[90:91], v[76:77]
	v_fma_f64 v[8:9], v[167:168], s[8:9], -v[8:9]
	v_add_f64 v[16:17], v[28:29], v[16:17]
	v_add_f64 v[84:85], v[86:87], v[84:85]
	;; [unrolled: 1-line block ×4, first 2 shown]
	buffer_load_dword v32, off, s[60:63], 0 offset:28 ; 4-byte Folded Reload
	buffer_load_dword v33, off, s[60:63], 0 offset:32 ; 4-byte Folded Reload
	;; [unrolled: 1-line block ×4, first 2 shown]
	v_fma_f64 v[28:29], v[207:208], s[8:9], v[88:89]
	v_add_f64 v[18:19], v[30:31], v[18:19]
	v_fma_f64 v[30:31], v[207:208], s[8:9], -v[88:89]
	v_add_f64 v[76:77], v[78:79], v[76:77]
	v_fma_f64 v[78:79], v[161:162], s[2:3], -v[2:3]
	v_add_f64 v[8:9], v[8:9], v[16:17]
	buffer_load_dword v88, off, s[60:63], 0 offset:164 ; 4-byte Folded Reload
	buffer_load_dword v89, off, s[60:63], 0 offset:168 ; 4-byte Folded Reload
	;; [unrolled: 1-line block ×6, first 2 shown]
	v_add_f64 v[84:85], v[4:5], v[84:85]
	v_add_f64 v[18:19], v[28:29], v[18:19]
	v_fma_f64 v[28:29], v[161:162], s[2:3], v[2:3]
	buffer_load_dword v161, off, s[60:63], 0 offset:12 ; 4-byte Folded Reload
	buffer_load_dword v162, off, s[60:63], 0 offset:16 ; 4-byte Folded Reload
	;; [unrolled: 1-line block ×4, first 2 shown]
	v_add_f64 v[30:31], v[30:31], v[76:77]
	v_add_f64 v[4:5], v[78:79], v[8:9]
	buffer_load_dword v76, off, s[60:63], 0 offset:60 ; 4-byte Folded Reload
	buffer_load_dword v77, off, s[60:63], 0 offset:64 ; 4-byte Folded Reload
	;; [unrolled: 1-line block ×4, first 2 shown]
	v_add_f64 v[6:7], v[222:223], v[6:7]
	v_mul_f64 v[193:194], v[142:143], s[38:39]
	v_add_f64 v[14:15], v[220:221], v[14:15]
	v_mul_f64 v[86:87], v[142:143], s[16:17]
	v_mov_b32_e32 v227, v228
	v_mov_b32_e32 v183, v215
	v_add_f64 v[6:7], v[218:219], v[6:7]
	v_fma_f64 v[0:1], v[205:206], s[18:19], v[193:194]
	v_add_f64 v[14:15], v[216:217], v[14:15]
	v_fma_f64 v[16:17], v[205:206], s[2:3], v[86:87]
	v_fma_f64 v[10:11], v[205:206], s[18:19], -v[193:194]
	v_fma_f64 v[86:87], v[205:206], s[2:3], -v[86:87]
	v_add_f64 v[2:3], v[16:17], v[18:19]
	v_add_f64 v[244:245], v[10:11], v[12:13]
	;; [unrolled: 1-line block ×4, first 2 shown]
	s_waitcnt vmcnt(10)
	v_add_f64 v[6:7], v[90:91], v[6:7]
	v_add_f64 v[14:15], v[88:89], v[14:15]
	s_waitcnt vmcnt(0)
	v_add_f64 v[8:9], v[78:79], v[6:7]
	v_add_f64 v[78:79], v[0:1], v[82:83]
	buffer_load_dword v1, off, s[60:63], 0 offset:108 ; 4-byte Folded Reload
	v_add_f64 v[6:7], v[76:77], v[14:15]
	v_mul_lo_u16_e32 v0, 17, v227
	s_waitcnt vmcnt(0)
	v_lshl_add_u32 v0, v0, 4, v1
	ds_write_b128 v0, v[6:9]
	ds_write_b128 v0, v[2:5] offset:16
	ds_write_b128 v0, v[78:81] offset:32
	;; [unrolled: 1-line block ×5, first 2 shown]
	buffer_load_dword v232, off, s[60:63], 0 offset:4 ; 4-byte Folded Reload
	buffer_load_dword v1, off, s[60:63], 0 offset:180 ; 4-byte Folded Reload
	;; [unrolled: 1-line block ×5, first 2 shown]
	s_waitcnt vmcnt(0)
	ds_write_b128 v0, v[1:4] offset:96
	buffer_load_dword v1, off, s[60:63], 0 offset:148 ; 4-byte Folded Reload
	buffer_load_dword v2, off, s[60:63], 0 offset:152 ; 4-byte Folded Reload
	buffer_load_dword v3, off, s[60:63], 0 offset:156 ; 4-byte Folded Reload
	buffer_load_dword v4, off, s[60:63], 0 offset:160 ; 4-byte Folded Reload
	s_waitcnt vmcnt(0)
	ds_write_b128 v0, v[1:4] offset:112
	buffer_load_dword v1, off, s[60:63], 0 offset:92 ; 4-byte Folded Reload
	buffer_load_dword v2, off, s[60:63], 0 offset:96 ; 4-byte Folded Reload
	buffer_load_dword v3, off, s[60:63], 0 offset:100 ; 4-byte Folded Reload
	buffer_load_dword v4, off, s[60:63], 0 offset:104 ; 4-byte Folded Reload
	;; [unrolled: 6-line block ×5, first 2 shown]
	s_waitcnt vmcnt(0)
	ds_write_b128 v0, v[1:4] offset:176
	ds_write_b128 v0, v[148:151] offset:192
	;; [unrolled: 1-line block ×6, first 2 shown]
.LBB0_13:
	s_or_b64 exec, exec, s[0:1]
	s_waitcnt lgkmcnt(0)
	s_barrier
	ds_read_b128 v[0:3], v225
	ds_read_b128 v[4:7], v225 offset:272
	ds_read_b128 v[8:11], v225 offset:1632
	;; [unrolled: 1-line block ×11, first 2 shown]
	s_waitcnt lgkmcnt(7)
	v_mul_f64 v[28:29], v[26:27], v[18:19]
	v_mul_f64 v[30:31], v[26:27], v[16:17]
	;; [unrolled: 1-line block ×4, first 2 shown]
	s_waitcnt lgkmcnt(3)
	v_mul_f64 v[108:109], v[42:43], v[90:91]
	v_mul_f64 v[110:111], v[42:43], v[88:89]
	;; [unrolled: 1-line block ×4, first 2 shown]
	v_fma_f64 v[16:17], v[24:25], v[16:17], v[28:29]
	v_fma_f64 v[18:19], v[24:25], v[18:19], -v[30:31]
	v_fma_f64 v[8:9], v[20:21], v[8:9], v[104:105]
	v_fma_f64 v[10:11], v[20:21], v[10:11], -v[106:107]
	;; [unrolled: 2-line block ×4, first 2 shown]
	v_mul_f64 v[26:27], v[22:23], v[14:15]
	v_mul_f64 v[22:23], v[22:23], v[12:13]
	v_add_f64 v[88:89], v[0:1], -v[8:9]
	v_add_f64 v[90:91], v[2:3], -v[10:11]
	;; [unrolled: 1-line block ×4, first 2 shown]
	s_waitcnt lgkmcnt(1)
	v_mul_f64 v[82:83], v[42:43], v[98:99]
	v_mul_f64 v[42:43], v[42:43], v[96:97]
	v_fma_f64 v[26:27], v[20:21], v[12:13], v[26:27]
	v_fma_f64 v[20:21], v[20:21], v[14:15], -v[22:23]
	v_fma_f64 v[8:9], v[0:1], 2.0, -v[88:89]
	v_fma_f64 v[10:11], v[2:3], 2.0, -v[90:91]
	;; [unrolled: 1-line block ×4, first 2 shown]
	v_mul_f64 v[12:13], v[38:39], v[86:87]
	v_mul_f64 v[14:15], v[38:39], v[84:85]
	;; [unrolled: 1-line block ×4, first 2 shown]
	s_waitcnt lgkmcnt(0)
	v_mul_f64 v[34:35], v[163:164], v[102:103]
	v_mul_f64 v[38:39], v[163:164], v[100:101]
	v_fma_f64 v[22:23], v[40:41], v[96:97], v[82:83]
	v_fma_f64 v[40:41], v[40:41], v[98:99], -v[42:43]
	v_fma_f64 v[42:43], v[36:37], v[84:85], v[12:13]
	v_fma_f64 v[36:37], v[36:37], v[86:87], -v[14:15]
	v_fma_f64 v[16:17], v[32:33], v[92:93], v[16:17]
	v_fma_f64 v[18:19], v[32:33], v[94:95], -v[18:19]
	v_fma_f64 v[32:33], v[161:162], v[100:101], v[34:35]
	v_fma_f64 v[34:35], v[161:162], v[102:103], -v[38:39]
	v_add_f64 v[38:39], v[4:5], -v[26:27]
	v_add_f64 v[82:83], v[6:7], -v[20:21]
	;; [unrolled: 1-line block ×4, first 2 shown]
	v_add_f64 v[12:13], v[88:89], v[30:31]
	v_add_f64 v[14:15], v[90:91], -v[28:29]
	v_add_f64 v[84:85], v[76:77], -v[16:17]
	;; [unrolled: 1-line block ×5, first 2 shown]
	v_fma_f64 v[32:33], v[4:5], 2.0, -v[38:39]
	v_fma_f64 v[34:35], v[6:7], 2.0, -v[82:83]
	;; [unrolled: 1-line block ×4, first 2 shown]
	v_add_f64 v[0:1], v[8:9], -v[0:1]
	v_add_f64 v[2:3], v[10:11], -v[2:3]
	v_fma_f64 v[40:41], v[76:77], 2.0, -v[84:85]
	v_fma_f64 v[76:77], v[78:79], 2.0, -v[86:87]
	;; [unrolled: 1-line block ×4, first 2 shown]
	v_add_f64 v[16:17], v[32:33], -v[16:17]
	v_add_f64 v[18:19], v[34:35], -v[18:19]
	v_add_f64 v[20:21], v[38:39], v[20:21]
	v_add_f64 v[22:23], v[82:83], -v[22:23]
	v_fma_f64 v[8:9], v[8:9], 2.0, -v[0:1]
	v_fma_f64 v[10:11], v[10:11], 2.0, -v[2:3]
	v_add_f64 v[24:25], v[40:41], -v[24:25]
	v_add_f64 v[26:27], v[76:77], -v[26:27]
	v_add_f64 v[28:29], v[84:85], v[28:29]
	v_add_f64 v[30:31], v[86:87], -v[30:31]
	v_fma_f64 v[4:5], v[88:89], 2.0, -v[12:13]
	v_fma_f64 v[6:7], v[90:91], 2.0, -v[14:15]
	;; [unrolled: 1-line block ×10, first 2 shown]
	s_barrier
	ds_write_b128 v225, v[8:11]
	ds_write_b128 v225, v[4:7] offset:272
	ds_write_b128 v225, v[0:3] offset:544
	;; [unrolled: 1-line block ×11, first 2 shown]
	s_waitcnt lgkmcnt(0)
	s_barrier
	ds_read_b128 v[0:3], v225 offset:1088
	ds_read_b128 v[4:7], v225
	ds_read_b128 v[8:11], v225 offset:272
	ds_read_b128 v[12:15], v225 offset:1360
	;; [unrolled: 1-line block ×4, first 2 shown]
	s_waitcnt lgkmcnt(5)
	v_mul_f64 v[80:81], v[50:51], v[2:3]
	v_mul_f64 v[50:51], v[50:51], v[0:1]
	ds_read_b128 v[24:27], v225 offset:544
	ds_read_b128 v[28:31], v225 offset:816
	s_waitcnt lgkmcnt(3)
	v_mul_f64 v[82:83], v[46:47], v[18:19]
	ds_read_b128 v[32:35], v225 offset:1632
	ds_read_b128 v[36:39], v225 offset:1904
	;; [unrolled: 1-line block ×4, first 2 shown]
	s_mov_b32 s0, 0xe8584caa
	s_mov_b32 s1, 0xbfebb67a
	v_fma_f64 v[80:81], v[48:49], v[0:1], v[80:81]
	v_mul_f64 v[0:1], v[46:47], v[16:17]
	v_mul_f64 v[46:47], v[58:59], v[14:15]
	v_fma_f64 v[2:3], v[48:49], v[2:3], -v[50:51]
	v_mul_f64 v[48:49], v[58:59], v[12:13]
	s_waitcnt lgkmcnt(6)
	v_mul_f64 v[50:51], v[54:55], v[22:23]
	v_fma_f64 v[16:17], v[44:45], v[16:17], v[82:83]
	s_waitcnt lgkmcnt(3)
	v_mul_f64 v[58:59], v[66:67], v[34:35]
	v_mul_f64 v[54:55], v[54:55], v[20:21]
	v_fma_f64 v[18:19], v[44:45], v[18:19], -v[0:1]
	v_mul_f64 v[0:1], v[66:67], v[32:33]
	v_fma_f64 v[44:45], v[56:57], v[12:13], v[46:47]
	s_waitcnt lgkmcnt(1)
	v_mul_f64 v[12:13], v[62:63], v[42:43]
	v_fma_f64 v[46:47], v[56:57], v[14:15], -v[48:49]
	v_fma_f64 v[20:21], v[52:53], v[20:21], v[50:51]
	v_fma_f64 v[48:49], v[64:65], v[32:33], v[58:59]
	v_mul_f64 v[14:15], v[62:63], v[40:41]
	v_mul_f64 v[32:33], v[74:75], v[36:37]
	v_fma_f64 v[34:35], v[64:65], v[34:35], -v[0:1]
	v_mul_f64 v[0:1], v[74:75], v[38:39]
	v_add_f64 v[50:51], v[80:81], v[16:17]
	v_fma_f64 v[40:41], v[60:61], v[40:41], v[12:13]
	s_waitcnt lgkmcnt(0)
	v_mul_f64 v[12:13], v[70:71], v[78:79]
	v_fma_f64 v[22:23], v[52:53], v[22:23], -v[54:55]
	v_fma_f64 v[42:43], v[60:61], v[42:43], -v[14:15]
	v_add_f64 v[14:15], v[4:5], v[80:81]
	v_fma_f64 v[38:39], v[72:73], v[38:39], -v[32:33]
	v_fma_f64 v[54:55], v[72:73], v[36:37], v[0:1]
	v_fma_f64 v[32:33], v[50:51], -0.5, v[4:5]
	v_add_f64 v[36:37], v[2:3], -v[18:19]
	v_fma_f64 v[50:51], v[68:69], v[76:77], v[12:13]
	v_add_f64 v[12:13], v[2:3], v[18:19]
	v_add_f64 v[2:3], v[6:7], v[2:3]
	v_mul_f64 v[52:53], v[70:71], v[76:77]
	v_add_f64 v[0:1], v[14:15], v[16:17]
	v_add_f64 v[14:15], v[44:45], v[20:21]
	v_add_f64 v[16:17], v[80:81], -v[16:17]
	s_mov_b32 s3, 0x3febb67a
	s_mov_b32 s2, s0
	v_fma_f64 v[56:57], v[12:13], -0.5, v[6:7]
	v_add_f64 v[2:3], v[2:3], v[18:19]
	v_add_f64 v[18:19], v[46:47], v[22:23]
	v_fma_f64 v[4:5], v[36:37], s[0:1], v[32:33]
	v_fma_f64 v[12:13], v[36:37], s[2:3], v[32:33]
	v_add_f64 v[32:33], v[8:9], v[44:45]
	v_add_f64 v[58:59], v[46:47], -v[22:23]
	v_add_f64 v[46:47], v[10:11], v[46:47]
	v_fma_f64 v[52:53], v[68:69], v[78:79], -v[52:53]
	v_fma_f64 v[36:37], v[14:15], -0.5, v[8:9]
	v_fma_f64 v[6:7], v[16:17], s[2:3], v[56:57]
	v_add_f64 v[60:61], v[48:49], v[40:41]
	v_fma_f64 v[14:15], v[16:17], s[0:1], v[56:57]
	v_fma_f64 v[56:57], v[18:19], -0.5, v[10:11]
	v_add_f64 v[44:45], v[44:45], -v[20:21]
	v_add_f64 v[8:9], v[32:33], v[20:21]
	v_add_f64 v[32:33], v[24:25], v[48:49]
	;; [unrolled: 1-line block ×4, first 2 shown]
	v_fma_f64 v[60:61], v[60:61], -0.5, v[24:25]
	v_add_f64 v[62:63], v[34:35], -v[42:43]
	v_add_f64 v[34:35], v[26:27], v[34:35]
	v_fma_f64 v[18:19], v[44:45], s[2:3], v[56:57]
	v_fma_f64 v[22:23], v[44:45], s[0:1], v[56:57]
	v_add_f64 v[44:45], v[54:55], v[50:51]
	v_add_f64 v[56:57], v[38:39], v[52:53]
	;; [unrolled: 1-line block ×3, first 2 shown]
	v_fma_f64 v[46:47], v[46:47], -0.5, v[26:27]
	v_add_f64 v[40:41], v[48:49], -v[40:41]
	v_fma_f64 v[16:17], v[58:59], s[0:1], v[36:37]
	v_fma_f64 v[20:21], v[58:59], s[2:3], v[36:37]
	;; [unrolled: 1-line block ×4, first 2 shown]
	v_add_f64 v[48:49], v[28:29], v[54:55]
	v_fma_f64 v[44:45], v[44:45], -0.5, v[28:29]
	v_add_f64 v[58:59], v[38:39], -v[52:53]
	v_add_f64 v[60:61], v[30:31], v[38:39]
	v_fma_f64 v[56:57], v[56:57], -0.5, v[30:31]
	v_add_f64 v[54:55], v[54:55], -v[50:51]
	v_add_f64 v[26:27], v[34:35], v[42:43]
	v_fma_f64 v[34:35], v[40:41], s[2:3], v[46:47]
	v_fma_f64 v[38:39], v[40:41], s[0:1], v[46:47]
	v_add_f64 v[28:29], v[48:49], v[50:51]
	v_fma_f64 v[40:41], v[58:59], s[0:1], v[44:45]
	v_fma_f64 v[44:45], v[58:59], s[2:3], v[44:45]
	;; [unrolled: 3-line block ×3, first 2 shown]
	ds_write_b128 v229, v[0:3]
	ds_write_b128 v229, v[4:7] offset:1088
	ds_write_b128 v229, v[12:15] offset:2176
	;; [unrolled: 1-line block ×11, first 2 shown]
	s_waitcnt lgkmcnt(0)
	s_barrier
	s_and_b64 exec, exec, vcc
	s_cbranch_execz .LBB0_15
; %bb.14:
	global_load_dwordx4 v[3:6], v160, s[12:13]
	buffer_load_dword v2, off, s[60:63], 0  ; 4-byte Folded Reload
	ds_read_b128 v[7:10], v229
	v_mad_u64_u32 v[0:1], s[0:1], s6, v183, 0
	v_mad_u64_u32 v[15:16], s[0:1], s4, v227, 0
	s_mul_i32 s3, s5, 0xc0
	s_mul_hi_u32 s6, s4, 0xc0
	s_mul_i32 s2, s4, 0xc0
	s_add_i32 s3, s6, s3
	s_mul_hi_u32 s8, s4, 0x180
	s_waitcnt vmcnt(1) lgkmcnt(0)
	v_mul_f64 v[17:18], v[9:10], v[5:6]
	v_mul_f64 v[5:6], v[7:8], v[5:6]
	s_waitcnt vmcnt(0)
	v_lshl_add_u32 v2, v2, 4, v160
	v_mad_u64_u32 v[19:20], s[0:1], s7, v183, v[1:2]
	ds_read_b128 v[11:14], v2 offset:192
	v_mov_b32_e32 v1, v19
	v_fma_f64 v[7:8], v[7:8], v[3:4], v[17:18]
	v_fma_f64 v[5:6], v[3:4], v[9:10], -v[5:6]
	v_mad_u64_u32 v[20:21], s[0:1], s5, v227, v[16:17]
	s_mov_b32 s0, 0x14141414
	s_mov_b32 s1, 0x3f741414
	v_lshlrev_b64 v[0:1], 4, v[0:1]
	v_mov_b32_e32 v16, v20
	v_mul_f64 v[3:4], v[7:8], s[0:1]
	v_mul_f64 v[5:6], v[5:6], s[0:1]
	v_mov_b32_e32 v17, s15
	v_lshlrev_b64 v[9:10], 4, v[15:16]
	v_add_co_u32_e32 v0, vcc, s14, v0
	v_addc_co_u32_e32 v1, vcc, v17, v1, vcc
	v_add_co_u32_e32 v7, vcc, v0, v9
	v_addc_co_u32_e32 v8, vcc, v1, v10, vcc
	global_store_dwordx4 v[7:8], v[3:6], off
	global_load_dwordx4 v[3:6], v160, s[12:13] offset:192
	v_add_co_u32_e32 v15, vcc, s2, v7
	v_mad_u64_u32 v[19:20], s[6:7], s4, v232, 0
	v_or_b32_e32 v21, 0x60, v227
	s_waitcnt vmcnt(0) lgkmcnt(0)
	v_mul_f64 v[9:10], v[13:14], v[5:6]
	v_mul_f64 v[5:6], v[11:12], v[5:6]
	v_fma_f64 v[9:10], v[11:12], v[3:4], v[9:10]
	v_fma_f64 v[5:6], v[3:4], v[13:14], -v[5:6]
	v_mul_f64 v[3:4], v[9:10], s[0:1]
	v_mul_f64 v[5:6], v[5:6], s[0:1]
	v_mov_b32_e32 v9, s3
	v_addc_co_u32_e32 v16, vcc, v8, v9, vcc
	global_store_dwordx4 v[15:16], v[3:6], off
	global_load_dwordx4 v[3:6], v160, s[12:13] offset:384
	ds_read_b128 v[7:10], v2 offset:384
	ds_read_b128 v[11:14], v2 offset:576
	s_waitcnt vmcnt(0) lgkmcnt(1)
	v_mul_f64 v[17:18], v[9:10], v[5:6]
	v_mul_f64 v[5:6], v[7:8], v[5:6]
	v_fma_f64 v[7:8], v[7:8], v[3:4], v[17:18]
	v_fma_f64 v[5:6], v[3:4], v[9:10], -v[5:6]
	v_mul_f64 v[3:4], v[7:8], s[0:1]
	v_mul_f64 v[5:6], v[5:6], s[0:1]
	v_mov_b32_e32 v8, s3
	v_add_co_u32_e32 v7, vcc, s2, v15
	v_addc_co_u32_e32 v8, vcc, v16, v8, vcc
	v_add_co_u32_e32 v15, vcc, s2, v7
	global_store_dwordx4 v[7:8], v[3:6], off
	global_load_dwordx4 v[3:6], v160, s[12:13] offset:576
	s_waitcnt vmcnt(0) lgkmcnt(0)
	v_mul_f64 v[9:10], v[13:14], v[5:6]
	v_mul_f64 v[5:6], v[11:12], v[5:6]
	v_fma_f64 v[9:10], v[11:12], v[3:4], v[9:10]
	v_fma_f64 v[5:6], v[3:4], v[13:14], -v[5:6]
	v_mul_f64 v[3:4], v[9:10], s[0:1]
	v_mul_f64 v[5:6], v[5:6], s[0:1]
	v_mov_b32_e32 v9, s3
	v_addc_co_u32_e32 v16, vcc, v8, v9, vcc
	global_store_dwordx4 v[15:16], v[3:6], off
	global_load_dwordx4 v[3:6], v160, s[12:13] offset:768
	ds_read_b128 v[7:10], v2 offset:768
	ds_read_b128 v[11:14], v2 offset:960
	s_waitcnt vmcnt(0) lgkmcnt(1)
	v_mul_f64 v[17:18], v[9:10], v[5:6]
	v_mul_f64 v[5:6], v[7:8], v[5:6]
	v_fma_f64 v[7:8], v[7:8], v[3:4], v[17:18]
	v_fma_f64 v[5:6], v[3:4], v[9:10], -v[5:6]
	v_mov_b32_e32 v3, v20
	v_mad_u64_u32 v[9:10], s[6:7], s5, v232, v[3:4]
	s_mul_i32 s7, s5, 0x180
	s_mul_i32 s6, s4, 0x180
	v_mov_b32_e32 v20, v9
	v_mul_f64 v[3:4], v[7:8], s[0:1]
	v_mul_f64 v[5:6], v[5:6], s[0:1]
	v_lshlrev_b64 v[7:8], 4, v[19:20]
	s_add_i32 s7, s8, s7
	v_add_co_u32_e32 v7, vcc, v0, v7
	v_addc_co_u32_e32 v8, vcc, v1, v8, vcc
	v_add_co_u32_e32 v15, vcc, s6, v15
	global_store_dwordx4 v[7:8], v[3:6], off
	global_load_dwordx4 v[3:6], v160, s[12:13] offset:960
	v_mad_u64_u32 v[19:20], s[8:9], s4, v21, 0
	s_waitcnt vmcnt(0) lgkmcnt(0)
	v_mul_f64 v[7:8], v[13:14], v[5:6]
	v_mul_f64 v[5:6], v[11:12], v[5:6]
	v_fma_f64 v[7:8], v[11:12], v[3:4], v[7:8]
	v_fma_f64 v[5:6], v[3:4], v[13:14], -v[5:6]
	v_mul_f64 v[3:4], v[7:8], s[0:1]
	v_mul_f64 v[5:6], v[5:6], s[0:1]
	v_mov_b32_e32 v7, s7
	v_addc_co_u32_e32 v16, vcc, v16, v7, vcc
	global_store_dwordx4 v[15:16], v[3:6], off
	global_load_dwordx4 v[3:6], v160, s[12:13] offset:1152
	ds_read_b128 v[7:10], v2 offset:1152
	ds_read_b128 v[11:14], v2 offset:1344
	s_waitcnt vmcnt(0) lgkmcnt(1)
	v_mul_f64 v[17:18], v[9:10], v[5:6]
	v_mul_f64 v[5:6], v[7:8], v[5:6]
	v_fma_f64 v[7:8], v[7:8], v[3:4], v[17:18]
	v_fma_f64 v[5:6], v[3:4], v[9:10], -v[5:6]
	v_mul_f64 v[3:4], v[7:8], s[0:1]
	v_mul_f64 v[5:6], v[5:6], s[0:1]
	v_mov_b32_e32 v8, s3
	v_add_co_u32_e32 v7, vcc, s2, v15
	v_addc_co_u32_e32 v8, vcc, v16, v8, vcc
	v_add_co_u32_e32 v15, vcc, s2, v7
	global_store_dwordx4 v[7:8], v[3:6], off
	global_load_dwordx4 v[3:6], v160, s[12:13] offset:1344
	s_waitcnt vmcnt(0) lgkmcnt(0)
	v_mul_f64 v[9:10], v[13:14], v[5:6]
	v_mul_f64 v[5:6], v[11:12], v[5:6]
	v_fma_f64 v[9:10], v[11:12], v[3:4], v[9:10]
	v_fma_f64 v[5:6], v[3:4], v[13:14], -v[5:6]
	v_mul_f64 v[3:4], v[9:10], s[0:1]
	v_mul_f64 v[5:6], v[5:6], s[0:1]
	v_mov_b32_e32 v9, s3
	v_addc_co_u32_e32 v16, vcc, v8, v9, vcc
	global_store_dwordx4 v[15:16], v[3:6], off
	global_load_dwordx4 v[3:6], v160, s[12:13] offset:1536
	ds_read_b128 v[7:10], v2 offset:1536
	ds_read_b128 v[11:14], v2 offset:1728
	s_waitcnt vmcnt(0) lgkmcnt(1)
	v_mul_f64 v[17:18], v[9:10], v[5:6]
	v_mul_f64 v[5:6], v[7:8], v[5:6]
	v_fma_f64 v[7:8], v[7:8], v[3:4], v[17:18]
	v_fma_f64 v[5:6], v[3:4], v[9:10], -v[5:6]
	v_mov_b32_e32 v3, v20
	v_mad_u64_u32 v[9:10], s[8:9], s5, v21, v[3:4]
	v_or_b32_e32 v21, 0x90, v227
	v_mov_b32_e32 v20, v9
	v_mul_f64 v[3:4], v[7:8], s[0:1]
	v_mul_f64 v[5:6], v[5:6], s[0:1]
	v_lshlrev_b64 v[7:8], 4, v[19:20]
	v_mad_u64_u32 v[19:20], s[8:9], s4, v21, 0
	v_add_co_u32_e32 v7, vcc, v0, v7
	v_addc_co_u32_e32 v8, vcc, v1, v8, vcc
	global_store_dwordx4 v[7:8], v[3:6], off
	global_load_dwordx4 v[3:6], v160, s[12:13] offset:1728
	v_add_co_u32_e32 v15, vcc, s6, v15
	s_waitcnt vmcnt(0) lgkmcnt(0)
	v_mul_f64 v[7:8], v[13:14], v[5:6]
	v_mul_f64 v[5:6], v[11:12], v[5:6]
	v_fma_f64 v[7:8], v[11:12], v[3:4], v[7:8]
	v_fma_f64 v[5:6], v[3:4], v[13:14], -v[5:6]
	v_mul_f64 v[3:4], v[7:8], s[0:1]
	v_mul_f64 v[5:6], v[5:6], s[0:1]
	v_mov_b32_e32 v7, s7
	v_addc_co_u32_e32 v16, vcc, v16, v7, vcc
	global_store_dwordx4 v[15:16], v[3:6], off
	global_load_dwordx4 v[3:6], v160, s[12:13] offset:1920
	ds_read_b128 v[7:10], v2 offset:1920
	ds_read_b128 v[11:14], v2 offset:2112
	s_waitcnt vmcnt(0) lgkmcnt(1)
	v_mul_f64 v[17:18], v[9:10], v[5:6]
	v_mul_f64 v[5:6], v[7:8], v[5:6]
	v_fma_f64 v[7:8], v[7:8], v[3:4], v[17:18]
	v_fma_f64 v[5:6], v[3:4], v[9:10], -v[5:6]
	v_mul_f64 v[3:4], v[7:8], s[0:1]
	v_mul_f64 v[5:6], v[5:6], s[0:1]
	v_mov_b32_e32 v8, s3
	v_add_co_u32_e32 v7, vcc, s2, v15
	v_addc_co_u32_e32 v8, vcc, v16, v8, vcc
	v_add_co_u32_e32 v15, vcc, s2, v7
	global_store_dwordx4 v[7:8], v[3:6], off
	global_load_dwordx4 v[3:6], v160, s[12:13] offset:2112
	s_waitcnt vmcnt(0) lgkmcnt(0)
	v_mul_f64 v[9:10], v[13:14], v[5:6]
	v_mul_f64 v[5:6], v[11:12], v[5:6]
	v_fma_f64 v[9:10], v[11:12], v[3:4], v[9:10]
	v_fma_f64 v[5:6], v[3:4], v[13:14], -v[5:6]
	v_mul_f64 v[3:4], v[9:10], s[0:1]
	v_mul_f64 v[5:6], v[5:6], s[0:1]
	v_mov_b32_e32 v9, s3
	v_addc_co_u32_e32 v16, vcc, v8, v9, vcc
	global_store_dwordx4 v[15:16], v[3:6], off
	global_load_dwordx4 v[3:6], v160, s[12:13] offset:2304
	ds_read_b128 v[7:10], v2 offset:2304
	ds_read_b128 v[11:14], v2 offset:2496
	s_waitcnt vmcnt(0) lgkmcnt(1)
	v_mul_f64 v[17:18], v[9:10], v[5:6]
	v_mul_f64 v[5:6], v[7:8], v[5:6]
	v_fma_f64 v[7:8], v[7:8], v[3:4], v[17:18]
	v_fma_f64 v[5:6], v[3:4], v[9:10], -v[5:6]
	v_mov_b32_e32 v3, v20
	v_mad_u64_u32 v[9:10], s[8:9], s5, v21, v[3:4]
	v_mov_b32_e32 v20, v9
	v_mul_f64 v[3:4], v[7:8], s[0:1]
	v_mul_f64 v[5:6], v[5:6], s[0:1]
	v_lshlrev_b64 v[7:8], 4, v[19:20]
	v_add_co_u32_e32 v7, vcc, v0, v7
	v_addc_co_u32_e32 v8, vcc, v1, v8, vcc
	v_add_co_u32_e32 v15, vcc, s6, v15
	global_store_dwordx4 v[7:8], v[3:6], off
	global_load_dwordx4 v[3:6], v160, s[12:13] offset:2496
	s_waitcnt vmcnt(0) lgkmcnt(0)
	v_mul_f64 v[7:8], v[13:14], v[5:6]
	v_mul_f64 v[5:6], v[11:12], v[5:6]
	v_fma_f64 v[7:8], v[11:12], v[3:4], v[7:8]
	v_fma_f64 v[5:6], v[3:4], v[13:14], -v[5:6]
	v_mul_f64 v[3:4], v[7:8], s[0:1]
	v_mul_f64 v[5:6], v[5:6], s[0:1]
	v_mov_b32_e32 v7, s7
	v_addc_co_u32_e32 v16, vcc, v16, v7, vcc
	global_store_dwordx4 v[15:16], v[3:6], off
	global_load_dwordx4 v[3:6], v160, s[12:13] offset:2688
	ds_read_b128 v[7:10], v2 offset:2688
	ds_read_b128 v[11:14], v2 offset:2880
	s_waitcnt vmcnt(0) lgkmcnt(1)
	v_mul_f64 v[17:18], v[9:10], v[5:6]
	v_mul_f64 v[5:6], v[7:8], v[5:6]
	v_fma_f64 v[7:8], v[7:8], v[3:4], v[17:18]
	v_fma_f64 v[5:6], v[3:4], v[9:10], -v[5:6]
	v_mul_f64 v[3:4], v[7:8], s[0:1]
	v_mul_f64 v[5:6], v[5:6], s[0:1]
	v_mov_b32_e32 v8, s3
	v_add_co_u32_e32 v7, vcc, s2, v15
	v_addc_co_u32_e32 v8, vcc, v16, v8, vcc
	global_store_dwordx4 v[7:8], v[3:6], off
	global_load_dwordx4 v[3:6], v160, s[12:13] offset:2880
	v_add_co_u32_e32 v7, vcc, s2, v7
	s_waitcnt vmcnt(0) lgkmcnt(0)
	v_mul_f64 v[9:10], v[13:14], v[5:6]
	v_mul_f64 v[5:6], v[11:12], v[5:6]
	v_fma_f64 v[9:10], v[11:12], v[3:4], v[9:10]
	v_fma_f64 v[5:6], v[3:4], v[13:14], -v[5:6]
	v_or_b32_e32 v13, 0xc0, v227
	v_mul_f64 v[3:4], v[9:10], s[0:1]
	v_mul_f64 v[5:6], v[5:6], s[0:1]
	v_mov_b32_e32 v9, s3
	v_addc_co_u32_e32 v8, vcc, v8, v9, vcc
	global_store_dwordx4 v[7:8], v[3:6], off
	global_load_dwordx4 v[3:6], v160, s[12:13] offset:3072
	ds_read_b128 v[7:10], v2 offset:3072
	s_waitcnt vmcnt(0) lgkmcnt(0)
	v_mul_f64 v[11:12], v[9:10], v[5:6]
	v_mul_f64 v[5:6], v[7:8], v[5:6]
	v_fma_f64 v[7:8], v[7:8], v[3:4], v[11:12]
	v_fma_f64 v[4:5], v[3:4], v[9:10], -v[5:6]
	v_mad_u64_u32 v[9:10], s[2:3], s4, v13, 0
	v_mov_b32_e32 v2, v10
	v_mad_u64_u32 v[10:11], s[2:3], s5, v13, v[2:3]
	v_mul_f64 v[2:3], v[7:8], s[0:1]
	v_mul_f64 v[4:5], v[4:5], s[0:1]
	v_lshlrev_b64 v[6:7], 4, v[9:10]
	v_add_co_u32_e32 v0, vcc, v0, v6
	v_addc_co_u32_e32 v1, vcc, v1, v7, vcc
	global_store_dwordx4 v[0:1], v[2:5], off
.LBB0_15:
	s_endpgm
	.section	.rodata,"a",@progbits
	.p2align	6, 0x0
	.amdhsa_kernel bluestein_single_fwd_len204_dim1_dp_op_CI_CI
		.amdhsa_group_segment_fixed_size 22848
		.amdhsa_private_segment_fixed_size 504
		.amdhsa_kernarg_size 104
		.amdhsa_user_sgpr_count 6
		.amdhsa_user_sgpr_private_segment_buffer 1
		.amdhsa_user_sgpr_dispatch_ptr 0
		.amdhsa_user_sgpr_queue_ptr 0
		.amdhsa_user_sgpr_kernarg_segment_ptr 1
		.amdhsa_user_sgpr_dispatch_id 0
		.amdhsa_user_sgpr_flat_scratch_init 0
		.amdhsa_user_sgpr_private_segment_size 0
		.amdhsa_uses_dynamic_stack 0
		.amdhsa_system_sgpr_private_segment_wavefront_offset 1
		.amdhsa_system_sgpr_workgroup_id_x 1
		.amdhsa_system_sgpr_workgroup_id_y 0
		.amdhsa_system_sgpr_workgroup_id_z 0
		.amdhsa_system_sgpr_workgroup_info 0
		.amdhsa_system_vgpr_workitem_id 0
		.amdhsa_next_free_vgpr 256
		.amdhsa_next_free_sgpr 64
		.amdhsa_reserve_vcc 1
		.amdhsa_reserve_flat_scratch 0
		.amdhsa_float_round_mode_32 0
		.amdhsa_float_round_mode_16_64 0
		.amdhsa_float_denorm_mode_32 3
		.amdhsa_float_denorm_mode_16_64 3
		.amdhsa_dx10_clamp 1
		.amdhsa_ieee_mode 1
		.amdhsa_fp16_overflow 0
		.amdhsa_exception_fp_ieee_invalid_op 0
		.amdhsa_exception_fp_denorm_src 0
		.amdhsa_exception_fp_ieee_div_zero 0
		.amdhsa_exception_fp_ieee_overflow 0
		.amdhsa_exception_fp_ieee_underflow 0
		.amdhsa_exception_fp_ieee_inexact 0
		.amdhsa_exception_int_div_zero 0
	.end_amdhsa_kernel
	.text
.Lfunc_end0:
	.size	bluestein_single_fwd_len204_dim1_dp_op_CI_CI, .Lfunc_end0-bluestein_single_fwd_len204_dim1_dp_op_CI_CI
                                        ; -- End function
	.section	.AMDGPU.csdata,"",@progbits
; Kernel info:
; codeLenInByte = 25236
; NumSgprs: 68
; NumVgprs: 256
; ScratchSize: 504
; MemoryBound: 0
; FloatMode: 240
; IeeeMode: 1
; LDSByteSize: 22848 bytes/workgroup (compile time only)
; SGPRBlocks: 8
; VGPRBlocks: 63
; NumSGPRsForWavesPerEU: 68
; NumVGPRsForWavesPerEU: 256
; Occupancy: 1
; WaveLimiterHint : 1
; COMPUTE_PGM_RSRC2:SCRATCH_EN: 1
; COMPUTE_PGM_RSRC2:USER_SGPR: 6
; COMPUTE_PGM_RSRC2:TRAP_HANDLER: 0
; COMPUTE_PGM_RSRC2:TGID_X_EN: 1
; COMPUTE_PGM_RSRC2:TGID_Y_EN: 0
; COMPUTE_PGM_RSRC2:TGID_Z_EN: 0
; COMPUTE_PGM_RSRC2:TIDIG_COMP_CNT: 0
	.type	__hip_cuid_4bfffd601ff88506,@object ; @__hip_cuid_4bfffd601ff88506
	.section	.bss,"aw",@nobits
	.globl	__hip_cuid_4bfffd601ff88506
__hip_cuid_4bfffd601ff88506:
	.byte	0                               ; 0x0
	.size	__hip_cuid_4bfffd601ff88506, 1

	.ident	"AMD clang version 19.0.0git (https://github.com/RadeonOpenCompute/llvm-project roc-6.4.0 25133 c7fe45cf4b819c5991fe208aaa96edf142730f1d)"
	.section	".note.GNU-stack","",@progbits
	.addrsig
	.addrsig_sym __hip_cuid_4bfffd601ff88506
	.amdgpu_metadata
---
amdhsa.kernels:
  - .args:
      - .actual_access:  read_only
        .address_space:  global
        .offset:         0
        .size:           8
        .value_kind:     global_buffer
      - .actual_access:  read_only
        .address_space:  global
        .offset:         8
        .size:           8
        .value_kind:     global_buffer
      - .actual_access:  read_only
        .address_space:  global
        .offset:         16
        .size:           8
        .value_kind:     global_buffer
      - .actual_access:  read_only
        .address_space:  global
        .offset:         24
        .size:           8
        .value_kind:     global_buffer
      - .actual_access:  read_only
        .address_space:  global
        .offset:         32
        .size:           8
        .value_kind:     global_buffer
      - .offset:         40
        .size:           8
        .value_kind:     by_value
      - .address_space:  global
        .offset:         48
        .size:           8
        .value_kind:     global_buffer
      - .address_space:  global
        .offset:         56
        .size:           8
        .value_kind:     global_buffer
      - .address_space:  global
        .offset:         64
        .size:           8
        .value_kind:     global_buffer
      - .address_space:  global
        .offset:         72
        .size:           8
        .value_kind:     global_buffer
      - .offset:         80
        .size:           4
        .value_kind:     by_value
      - .address_space:  global
        .offset:         88
        .size:           8
        .value_kind:     global_buffer
      - .address_space:  global
        .offset:         96
        .size:           8
        .value_kind:     global_buffer
    .group_segment_fixed_size: 22848
    .kernarg_segment_align: 8
    .kernarg_segment_size: 104
    .language:       OpenCL C
    .language_version:
      - 2
      - 0
    .max_flat_workgroup_size: 119
    .name:           bluestein_single_fwd_len204_dim1_dp_op_CI_CI
    .private_segment_fixed_size: 504
    .sgpr_count:     68
    .sgpr_spill_count: 0
    .symbol:         bluestein_single_fwd_len204_dim1_dp_op_CI_CI.kd
    .uniform_work_group_size: 1
    .uses_dynamic_stack: false
    .vgpr_count:     256
    .vgpr_spill_count: 149
    .wavefront_size: 64
amdhsa.target:   amdgcn-amd-amdhsa--gfx906
amdhsa.version:
  - 1
  - 2
...

	.end_amdgpu_metadata
